;; amdgpu-corpus repo=ROCm/vllm kind=compiled arch=gfx950 opt=O3
	.amdgcn_target "amdgcn-amd-amdhsa--gfx950"
	.amdhsa_code_object_version 6
	.section	.text._ZN4vllm18copy_blocks_kernelIfEEvPlS1_PKli,"axG",@progbits,_ZN4vllm18copy_blocks_kernelIfEEvPlS1_PKli,comdat
	.protected	_ZN4vllm18copy_blocks_kernelIfEEvPlS1_PKli ; -- Begin function _ZN4vllm18copy_blocks_kernelIfEEvPlS1_PKli
	.globl	_ZN4vllm18copy_blocks_kernelIfEEvPlS1_PKli
	.p2align	8
	.type	_ZN4vllm18copy_blocks_kernelIfEEvPlS1_PKli,@function
_ZN4vllm18copy_blocks_kernelIfEEvPlS1_PKli: ; @_ZN4vllm18copy_blocks_kernelIfEEvPlS1_PKli
; %bb.0:
	s_load_dword s12, s[0:1], 0x18
	s_waitcnt lgkmcnt(0)
	v_cmp_gt_i32_e32 vcc, s12, v0
	s_and_saveexec_b64 s[6:7], vcc
	s_cbranch_execz .LBB0_5
; %bb.1:
	s_load_dwordx4 s[8:11], s[0:1], 0x0
	s_load_dwordx2 s[6:7], s[0:1], 0x10
	s_mov_b32 s4, s3
	s_ashr_i32 s3, s2, 31
	s_lshl_b64 s[2:3], s[2:3], 3
	s_waitcnt lgkmcnt(0)
	s_add_u32 s10, s10, s2
	s_addc_u32 s11, s11, s3
	s_lshl_b32 s4, s4, 1
	s_ashr_i32 s5, s4, 31
	s_lshl_b64 s[4:5], s[4:5], 3
	s_add_u32 s14, s6, s4
	s_addc_u32 s15, s7, s5
	s_load_dwordx4 s[4:7], s[14:15], 0x0
	s_ashr_i32 s13, s12, 31
	v_mov_b32_e32 v2, v0
	s_waitcnt lgkmcnt(0)
	s_mul_i32 s14, s4, s13
	s_mul_hi_u32 s15, s4, s12
	s_mul_i32 s5, s5, s12
	s_add_i32 s14, s15, s14
	s_mul_i32 s13, s6, s13
	s_add_i32 s5, s14, s5
	s_mul_hi_u32 s14, s6, s12
	s_add_i32 s13, s14, s13
	s_mul_i32 s7, s7, s12
	s_add_i32 s15, s13, s7
	s_add_u32 s8, s8, s2
	s_addc_u32 s9, s9, s3
	s_load_dwordx2 s[16:17], s[8:9], 0x0
	s_load_dwordx2 s[2:3], s[10:11], 0x0
	s_mul_i32 s4, s4, s12
	s_load_dword s10, s[0:1], 0x2c
	s_lshl_b64 s[4:5], s[4:5], 2
	s_mul_i32 s14, s6, s12
	s_waitcnt lgkmcnt(0)
	s_add_u32 s6, s16, s4
	s_addc_u32 s7, s17, s5
	s_lshl_b64 s[0:1], s[14:15], 2
	s_add_u32 s8, s16, s0
	s_addc_u32 s9, s17, s1
	s_and_b32 s13, s10, 0xffff
	s_mov_b64 s[10:11], 0
.LBB0_2:                                ; =>This Inner Loop Header: Depth=1
	v_ashrrev_i32_e32 v3, 31, v2
	v_lshlrev_b64 v[4:5], 2, v[2:3]
	v_lshl_add_u64 v[6:7], s[6:7], 0, v[4:5]
	flat_load_dword v1, v[6:7]
	v_add_u32_e32 v2, s13, v2
	v_cmp_le_i32_e32 vcc, s12, v2
	v_lshl_add_u64 v[4:5], s[8:9], 0, v[4:5]
	s_or_b64 s[10:11], vcc, s[10:11]
	s_waitcnt vmcnt(0) lgkmcnt(0)
	flat_store_dword v[4:5], v1
	s_andn2_b64 exec, exec, s[10:11]
	s_cbranch_execnz .LBB0_2
; %bb.3:
	s_or_b64 exec, exec, s[10:11]
	s_add_u32 s4, s2, s4
	s_addc_u32 s5, s3, s5
	s_add_u32 s0, s2, s0
	s_addc_u32 s1, s3, s1
	s_mov_b64 s[2:3], 0
.LBB0_4:                                ; =>This Inner Loop Header: Depth=1
	v_ashrrev_i32_e32 v1, 31, v0
	v_lshlrev_b64 v[2:3], 2, v[0:1]
	v_lshl_add_u64 v[4:5], s[4:5], 0, v[2:3]
	flat_load_dword v1, v[4:5]
	v_add_u32_e32 v0, s13, v0
	v_cmp_le_i32_e32 vcc, s12, v0
	v_lshl_add_u64 v[2:3], s[0:1], 0, v[2:3]
	s_or_b64 s[2:3], vcc, s[2:3]
	s_waitcnt vmcnt(0) lgkmcnt(0)
	flat_store_dword v[2:3], v1
	s_andn2_b64 exec, exec, s[2:3]
	s_cbranch_execnz .LBB0_4
.LBB0_5:
	s_endpgm
	.section	.rodata,"a",@progbits
	.p2align	6, 0x0
	.amdhsa_kernel _ZN4vllm18copy_blocks_kernelIfEEvPlS1_PKli
		.amdhsa_group_segment_fixed_size 0
		.amdhsa_private_segment_fixed_size 0
		.amdhsa_kernarg_size 288
		.amdhsa_user_sgpr_count 2
		.amdhsa_user_sgpr_dispatch_ptr 0
		.amdhsa_user_sgpr_queue_ptr 0
		.amdhsa_user_sgpr_kernarg_segment_ptr 1
		.amdhsa_user_sgpr_dispatch_id 0
		.amdhsa_user_sgpr_kernarg_preload_length 0
		.amdhsa_user_sgpr_kernarg_preload_offset 0
		.amdhsa_user_sgpr_private_segment_size 0
		.amdhsa_uses_dynamic_stack 0
		.amdhsa_enable_private_segment 0
		.amdhsa_system_sgpr_workgroup_id_x 1
		.amdhsa_system_sgpr_workgroup_id_y 1
		.amdhsa_system_sgpr_workgroup_id_z 0
		.amdhsa_system_sgpr_workgroup_info 0
		.amdhsa_system_vgpr_workitem_id 0
		.amdhsa_next_free_vgpr 8
		.amdhsa_next_free_sgpr 18
		.amdhsa_accum_offset 8
		.amdhsa_reserve_vcc 1
		.amdhsa_float_round_mode_32 0
		.amdhsa_float_round_mode_16_64 0
		.amdhsa_float_denorm_mode_32 3
		.amdhsa_float_denorm_mode_16_64 3
		.amdhsa_dx10_clamp 1
		.amdhsa_ieee_mode 1
		.amdhsa_fp16_overflow 0
		.amdhsa_tg_split 0
		.amdhsa_exception_fp_ieee_invalid_op 0
		.amdhsa_exception_fp_denorm_src 0
		.amdhsa_exception_fp_ieee_div_zero 0
		.amdhsa_exception_fp_ieee_overflow 0
		.amdhsa_exception_fp_ieee_underflow 0
		.amdhsa_exception_fp_ieee_inexact 0
		.amdhsa_exception_int_div_zero 0
	.end_amdhsa_kernel
	.section	.text._ZN4vllm18copy_blocks_kernelIfEEvPlS1_PKli,"axG",@progbits,_ZN4vllm18copy_blocks_kernelIfEEvPlS1_PKli,comdat
.Lfunc_end0:
	.size	_ZN4vllm18copy_blocks_kernelIfEEvPlS1_PKli, .Lfunc_end0-_ZN4vllm18copy_blocks_kernelIfEEvPlS1_PKli
                                        ; -- End function
	.set _ZN4vllm18copy_blocks_kernelIfEEvPlS1_PKli.num_vgpr, 8
	.set _ZN4vllm18copy_blocks_kernelIfEEvPlS1_PKli.num_agpr, 0
	.set _ZN4vllm18copy_blocks_kernelIfEEvPlS1_PKli.numbered_sgpr, 18
	.set _ZN4vllm18copy_blocks_kernelIfEEvPlS1_PKli.num_named_barrier, 0
	.set _ZN4vllm18copy_blocks_kernelIfEEvPlS1_PKli.private_seg_size, 0
	.set _ZN4vllm18copy_blocks_kernelIfEEvPlS1_PKli.uses_vcc, 1
	.set _ZN4vllm18copy_blocks_kernelIfEEvPlS1_PKli.uses_flat_scratch, 0
	.set _ZN4vllm18copy_blocks_kernelIfEEvPlS1_PKli.has_dyn_sized_stack, 0
	.set _ZN4vllm18copy_blocks_kernelIfEEvPlS1_PKli.has_recursion, 0
	.set _ZN4vllm18copy_blocks_kernelIfEEvPlS1_PKli.has_indirect_call, 0
	.section	.AMDGPU.csdata,"",@progbits
; Kernel info:
; codeLenInByte = 388
; TotalNumSgprs: 24
; NumVgprs: 8
; NumAgprs: 0
; TotalNumVgprs: 8
; ScratchSize: 0
; MemoryBound: 0
; FloatMode: 240
; IeeeMode: 1
; LDSByteSize: 0 bytes/workgroup (compile time only)
; SGPRBlocks: 2
; VGPRBlocks: 0
; NumSGPRsForWavesPerEU: 24
; NumVGPRsForWavesPerEU: 8
; AccumOffset: 8
; Occupancy: 8
; WaveLimiterHint : 1
; COMPUTE_PGM_RSRC2:SCRATCH_EN: 0
; COMPUTE_PGM_RSRC2:USER_SGPR: 2
; COMPUTE_PGM_RSRC2:TRAP_HANDLER: 0
; COMPUTE_PGM_RSRC2:TGID_X_EN: 1
; COMPUTE_PGM_RSRC2:TGID_Y_EN: 1
; COMPUTE_PGM_RSRC2:TGID_Z_EN: 0
; COMPUTE_PGM_RSRC2:TIDIG_COMP_CNT: 0
; COMPUTE_PGM_RSRC3_GFX90A:ACCUM_OFFSET: 1
; COMPUTE_PGM_RSRC3_GFX90A:TG_SPLIT: 0
	.section	.text._ZN4vllm18copy_blocks_kernelIN3c104HalfEEEvPlS3_PKli,"axG",@progbits,_ZN4vllm18copy_blocks_kernelIN3c104HalfEEEvPlS3_PKli,comdat
	.protected	_ZN4vllm18copy_blocks_kernelIN3c104HalfEEEvPlS3_PKli ; -- Begin function _ZN4vllm18copy_blocks_kernelIN3c104HalfEEEvPlS3_PKli
	.globl	_ZN4vllm18copy_blocks_kernelIN3c104HalfEEEvPlS3_PKli
	.p2align	8
	.type	_ZN4vllm18copy_blocks_kernelIN3c104HalfEEEvPlS3_PKli,@function
_ZN4vllm18copy_blocks_kernelIN3c104HalfEEEvPlS3_PKli: ; @_ZN4vllm18copy_blocks_kernelIN3c104HalfEEEvPlS3_PKli
; %bb.0:
	s_load_dword s12, s[0:1], 0x18
	s_waitcnt lgkmcnt(0)
	v_cmp_gt_i32_e32 vcc, s12, v0
	s_and_saveexec_b64 s[6:7], vcc
	s_cbranch_execz .LBB1_5
; %bb.1:
	s_load_dwordx4 s[8:11], s[0:1], 0x0
	s_load_dwordx2 s[6:7], s[0:1], 0x10
	s_mov_b32 s4, s3
	s_ashr_i32 s3, s2, 31
	s_lshl_b64 s[2:3], s[2:3], 3
	s_waitcnt lgkmcnt(0)
	s_add_u32 s10, s10, s2
	s_addc_u32 s11, s11, s3
	s_lshl_b32 s4, s4, 1
	s_ashr_i32 s5, s4, 31
	s_lshl_b64 s[4:5], s[4:5], 3
	s_add_u32 s14, s6, s4
	s_addc_u32 s15, s7, s5
	s_load_dwordx4 s[4:7], s[14:15], 0x0
	s_ashr_i32 s13, s12, 31
	v_mov_b32_e32 v2, v0
	s_waitcnt lgkmcnt(0)
	s_mul_i32 s14, s4, s13
	s_mul_hi_u32 s15, s4, s12
	s_mul_i32 s5, s5, s12
	s_add_i32 s14, s15, s14
	s_mul_i32 s13, s6, s13
	s_add_i32 s5, s14, s5
	s_mul_hi_u32 s14, s6, s12
	s_add_i32 s13, s14, s13
	s_mul_i32 s7, s7, s12
	s_add_i32 s15, s13, s7
	s_add_u32 s8, s8, s2
	s_addc_u32 s9, s9, s3
	s_load_dwordx2 s[16:17], s[8:9], 0x0
	s_load_dwordx2 s[2:3], s[10:11], 0x0
	s_mul_i32 s4, s4, s12
	s_load_dword s10, s[0:1], 0x2c
	s_lshl_b64 s[4:5], s[4:5], 1
	s_mul_i32 s14, s6, s12
	s_waitcnt lgkmcnt(0)
	s_add_u32 s6, s16, s4
	s_addc_u32 s7, s17, s5
	s_lshl_b64 s[0:1], s[14:15], 1
	s_add_u32 s8, s16, s0
	s_addc_u32 s9, s17, s1
	s_and_b32 s13, s10, 0xffff
	s_mov_b64 s[10:11], 0
.LBB1_2:                                ; =>This Inner Loop Header: Depth=1
	v_ashrrev_i32_e32 v3, 31, v2
	v_lshlrev_b64 v[4:5], 1, v[2:3]
	v_lshl_add_u64 v[6:7], s[6:7], 0, v[4:5]
	flat_load_ushort v1, v[6:7]
	v_add_u32_e32 v2, s13, v2
	v_cmp_le_i32_e32 vcc, s12, v2
	v_lshl_add_u64 v[4:5], s[8:9], 0, v[4:5]
	s_or_b64 s[10:11], vcc, s[10:11]
	s_waitcnt vmcnt(0) lgkmcnt(0)
	flat_store_short v[4:5], v1
	s_andn2_b64 exec, exec, s[10:11]
	s_cbranch_execnz .LBB1_2
; %bb.3:
	s_or_b64 exec, exec, s[10:11]
	s_add_u32 s4, s2, s4
	s_addc_u32 s5, s3, s5
	s_add_u32 s0, s2, s0
	s_addc_u32 s1, s3, s1
	s_mov_b64 s[2:3], 0
.LBB1_4:                                ; =>This Inner Loop Header: Depth=1
	v_ashrrev_i32_e32 v1, 31, v0
	v_lshlrev_b64 v[2:3], 1, v[0:1]
	v_lshl_add_u64 v[4:5], s[4:5], 0, v[2:3]
	flat_load_ushort v1, v[4:5]
	v_add_u32_e32 v0, s13, v0
	v_cmp_le_i32_e32 vcc, s12, v0
	v_lshl_add_u64 v[2:3], s[0:1], 0, v[2:3]
	s_or_b64 s[2:3], vcc, s[2:3]
	s_waitcnt vmcnt(0) lgkmcnt(0)
	flat_store_short v[2:3], v1
	s_andn2_b64 exec, exec, s[2:3]
	s_cbranch_execnz .LBB1_4
.LBB1_5:
	s_endpgm
	.section	.rodata,"a",@progbits
	.p2align	6, 0x0
	.amdhsa_kernel _ZN4vllm18copy_blocks_kernelIN3c104HalfEEEvPlS3_PKli
		.amdhsa_group_segment_fixed_size 0
		.amdhsa_private_segment_fixed_size 0
		.amdhsa_kernarg_size 288
		.amdhsa_user_sgpr_count 2
		.amdhsa_user_sgpr_dispatch_ptr 0
		.amdhsa_user_sgpr_queue_ptr 0
		.amdhsa_user_sgpr_kernarg_segment_ptr 1
		.amdhsa_user_sgpr_dispatch_id 0
		.amdhsa_user_sgpr_kernarg_preload_length 0
		.amdhsa_user_sgpr_kernarg_preload_offset 0
		.amdhsa_user_sgpr_private_segment_size 0
		.amdhsa_uses_dynamic_stack 0
		.amdhsa_enable_private_segment 0
		.amdhsa_system_sgpr_workgroup_id_x 1
		.amdhsa_system_sgpr_workgroup_id_y 1
		.amdhsa_system_sgpr_workgroup_id_z 0
		.amdhsa_system_sgpr_workgroup_info 0
		.amdhsa_system_vgpr_workitem_id 0
		.amdhsa_next_free_vgpr 8
		.amdhsa_next_free_sgpr 18
		.amdhsa_accum_offset 8
		.amdhsa_reserve_vcc 1
		.amdhsa_float_round_mode_32 0
		.amdhsa_float_round_mode_16_64 0
		.amdhsa_float_denorm_mode_32 3
		.amdhsa_float_denorm_mode_16_64 3
		.amdhsa_dx10_clamp 1
		.amdhsa_ieee_mode 1
		.amdhsa_fp16_overflow 0
		.amdhsa_tg_split 0
		.amdhsa_exception_fp_ieee_invalid_op 0
		.amdhsa_exception_fp_denorm_src 0
		.amdhsa_exception_fp_ieee_div_zero 0
		.amdhsa_exception_fp_ieee_overflow 0
		.amdhsa_exception_fp_ieee_underflow 0
		.amdhsa_exception_fp_ieee_inexact 0
		.amdhsa_exception_int_div_zero 0
	.end_amdhsa_kernel
	.section	.text._ZN4vllm18copy_blocks_kernelIN3c104HalfEEEvPlS3_PKli,"axG",@progbits,_ZN4vllm18copy_blocks_kernelIN3c104HalfEEEvPlS3_PKli,comdat
.Lfunc_end1:
	.size	_ZN4vllm18copy_blocks_kernelIN3c104HalfEEEvPlS3_PKli, .Lfunc_end1-_ZN4vllm18copy_blocks_kernelIN3c104HalfEEEvPlS3_PKli
                                        ; -- End function
	.set _ZN4vllm18copy_blocks_kernelIN3c104HalfEEEvPlS3_PKli.num_vgpr, 8
	.set _ZN4vllm18copy_blocks_kernelIN3c104HalfEEEvPlS3_PKli.num_agpr, 0
	.set _ZN4vllm18copy_blocks_kernelIN3c104HalfEEEvPlS3_PKli.numbered_sgpr, 18
	.set _ZN4vllm18copy_blocks_kernelIN3c104HalfEEEvPlS3_PKli.num_named_barrier, 0
	.set _ZN4vllm18copy_blocks_kernelIN3c104HalfEEEvPlS3_PKli.private_seg_size, 0
	.set _ZN4vllm18copy_blocks_kernelIN3c104HalfEEEvPlS3_PKli.uses_vcc, 1
	.set _ZN4vllm18copy_blocks_kernelIN3c104HalfEEEvPlS3_PKli.uses_flat_scratch, 0
	.set _ZN4vllm18copy_blocks_kernelIN3c104HalfEEEvPlS3_PKli.has_dyn_sized_stack, 0
	.set _ZN4vllm18copy_blocks_kernelIN3c104HalfEEEvPlS3_PKli.has_recursion, 0
	.set _ZN4vllm18copy_blocks_kernelIN3c104HalfEEEvPlS3_PKli.has_indirect_call, 0
	.section	.AMDGPU.csdata,"",@progbits
; Kernel info:
; codeLenInByte = 388
; TotalNumSgprs: 24
; NumVgprs: 8
; NumAgprs: 0
; TotalNumVgprs: 8
; ScratchSize: 0
; MemoryBound: 0
; FloatMode: 240
; IeeeMode: 1
; LDSByteSize: 0 bytes/workgroup (compile time only)
; SGPRBlocks: 2
; VGPRBlocks: 0
; NumSGPRsForWavesPerEU: 24
; NumVGPRsForWavesPerEU: 8
; AccumOffset: 8
; Occupancy: 8
; WaveLimiterHint : 1
; COMPUTE_PGM_RSRC2:SCRATCH_EN: 0
; COMPUTE_PGM_RSRC2:USER_SGPR: 2
; COMPUTE_PGM_RSRC2:TRAP_HANDLER: 0
; COMPUTE_PGM_RSRC2:TGID_X_EN: 1
; COMPUTE_PGM_RSRC2:TGID_Y_EN: 1
; COMPUTE_PGM_RSRC2:TGID_Z_EN: 0
; COMPUTE_PGM_RSRC2:TIDIG_COMP_CNT: 0
; COMPUTE_PGM_RSRC3_GFX90A:ACCUM_OFFSET: 1
; COMPUTE_PGM_RSRC3_GFX90A:TG_SPLIT: 0
	.section	.text._ZN4vllm18copy_blocks_kernelIN3c108BFloat16EEEvPlS3_PKli,"axG",@progbits,_ZN4vllm18copy_blocks_kernelIN3c108BFloat16EEEvPlS3_PKli,comdat
	.protected	_ZN4vllm18copy_blocks_kernelIN3c108BFloat16EEEvPlS3_PKli ; -- Begin function _ZN4vllm18copy_blocks_kernelIN3c108BFloat16EEEvPlS3_PKli
	.globl	_ZN4vllm18copy_blocks_kernelIN3c108BFloat16EEEvPlS3_PKli
	.p2align	8
	.type	_ZN4vllm18copy_blocks_kernelIN3c108BFloat16EEEvPlS3_PKli,@function
_ZN4vllm18copy_blocks_kernelIN3c108BFloat16EEEvPlS3_PKli: ; @_ZN4vllm18copy_blocks_kernelIN3c108BFloat16EEEvPlS3_PKli
; %bb.0:
	s_load_dword s12, s[0:1], 0x18
	s_waitcnt lgkmcnt(0)
	v_cmp_gt_i32_e32 vcc, s12, v0
	s_and_saveexec_b64 s[6:7], vcc
	s_cbranch_execz .LBB2_5
; %bb.1:
	s_load_dwordx4 s[8:11], s[0:1], 0x0
	s_load_dwordx2 s[6:7], s[0:1], 0x10
	s_mov_b32 s4, s3
	s_ashr_i32 s3, s2, 31
	s_lshl_b64 s[2:3], s[2:3], 3
	s_waitcnt lgkmcnt(0)
	s_add_u32 s10, s10, s2
	s_addc_u32 s11, s11, s3
	s_lshl_b32 s4, s4, 1
	s_ashr_i32 s5, s4, 31
	s_lshl_b64 s[4:5], s[4:5], 3
	s_add_u32 s14, s6, s4
	s_addc_u32 s15, s7, s5
	s_load_dwordx4 s[4:7], s[14:15], 0x0
	s_ashr_i32 s13, s12, 31
	v_mov_b32_e32 v2, v0
	s_waitcnt lgkmcnt(0)
	s_mul_i32 s14, s4, s13
	s_mul_hi_u32 s15, s4, s12
	s_mul_i32 s5, s5, s12
	s_add_i32 s14, s15, s14
	s_mul_i32 s13, s6, s13
	s_add_i32 s5, s14, s5
	s_mul_hi_u32 s14, s6, s12
	s_add_i32 s13, s14, s13
	s_mul_i32 s7, s7, s12
	s_add_i32 s15, s13, s7
	s_add_u32 s8, s8, s2
	s_addc_u32 s9, s9, s3
	s_load_dwordx2 s[16:17], s[8:9], 0x0
	s_load_dwordx2 s[2:3], s[10:11], 0x0
	s_mul_i32 s4, s4, s12
	s_load_dword s10, s[0:1], 0x2c
	s_lshl_b64 s[4:5], s[4:5], 1
	s_mul_i32 s14, s6, s12
	s_waitcnt lgkmcnt(0)
	s_add_u32 s6, s16, s4
	s_addc_u32 s7, s17, s5
	s_lshl_b64 s[0:1], s[14:15], 1
	s_add_u32 s8, s16, s0
	s_addc_u32 s9, s17, s1
	s_and_b32 s13, s10, 0xffff
	s_mov_b64 s[10:11], 0
.LBB2_2:                                ; =>This Inner Loop Header: Depth=1
	v_ashrrev_i32_e32 v3, 31, v2
	v_lshlrev_b64 v[4:5], 1, v[2:3]
	v_lshl_add_u64 v[6:7], s[6:7], 0, v[4:5]
	flat_load_ushort v1, v[6:7]
	v_add_u32_e32 v2, s13, v2
	v_cmp_le_i32_e32 vcc, s12, v2
	v_lshl_add_u64 v[4:5], s[8:9], 0, v[4:5]
	s_or_b64 s[10:11], vcc, s[10:11]
	s_waitcnt vmcnt(0) lgkmcnt(0)
	flat_store_short v[4:5], v1
	s_andn2_b64 exec, exec, s[10:11]
	s_cbranch_execnz .LBB2_2
; %bb.3:
	s_or_b64 exec, exec, s[10:11]
	s_add_u32 s4, s2, s4
	s_addc_u32 s5, s3, s5
	s_add_u32 s0, s2, s0
	s_addc_u32 s1, s3, s1
	s_mov_b64 s[2:3], 0
.LBB2_4:                                ; =>This Inner Loop Header: Depth=1
	v_ashrrev_i32_e32 v1, 31, v0
	v_lshlrev_b64 v[2:3], 1, v[0:1]
	v_lshl_add_u64 v[4:5], s[4:5], 0, v[2:3]
	flat_load_ushort v1, v[4:5]
	v_add_u32_e32 v0, s13, v0
	v_cmp_le_i32_e32 vcc, s12, v0
	v_lshl_add_u64 v[2:3], s[0:1], 0, v[2:3]
	s_or_b64 s[2:3], vcc, s[2:3]
	s_waitcnt vmcnt(0) lgkmcnt(0)
	flat_store_short v[2:3], v1
	s_andn2_b64 exec, exec, s[2:3]
	s_cbranch_execnz .LBB2_4
.LBB2_5:
	s_endpgm
	.section	.rodata,"a",@progbits
	.p2align	6, 0x0
	.amdhsa_kernel _ZN4vllm18copy_blocks_kernelIN3c108BFloat16EEEvPlS3_PKli
		.amdhsa_group_segment_fixed_size 0
		.amdhsa_private_segment_fixed_size 0
		.amdhsa_kernarg_size 288
		.amdhsa_user_sgpr_count 2
		.amdhsa_user_sgpr_dispatch_ptr 0
		.amdhsa_user_sgpr_queue_ptr 0
		.amdhsa_user_sgpr_kernarg_segment_ptr 1
		.amdhsa_user_sgpr_dispatch_id 0
		.amdhsa_user_sgpr_kernarg_preload_length 0
		.amdhsa_user_sgpr_kernarg_preload_offset 0
		.amdhsa_user_sgpr_private_segment_size 0
		.amdhsa_uses_dynamic_stack 0
		.amdhsa_enable_private_segment 0
		.amdhsa_system_sgpr_workgroup_id_x 1
		.amdhsa_system_sgpr_workgroup_id_y 1
		.amdhsa_system_sgpr_workgroup_id_z 0
		.amdhsa_system_sgpr_workgroup_info 0
		.amdhsa_system_vgpr_workitem_id 0
		.amdhsa_next_free_vgpr 8
		.amdhsa_next_free_sgpr 18
		.amdhsa_accum_offset 8
		.amdhsa_reserve_vcc 1
		.amdhsa_float_round_mode_32 0
		.amdhsa_float_round_mode_16_64 0
		.amdhsa_float_denorm_mode_32 3
		.amdhsa_float_denorm_mode_16_64 3
		.amdhsa_dx10_clamp 1
		.amdhsa_ieee_mode 1
		.amdhsa_fp16_overflow 0
		.amdhsa_tg_split 0
		.amdhsa_exception_fp_ieee_invalid_op 0
		.amdhsa_exception_fp_denorm_src 0
		.amdhsa_exception_fp_ieee_div_zero 0
		.amdhsa_exception_fp_ieee_overflow 0
		.amdhsa_exception_fp_ieee_underflow 0
		.amdhsa_exception_fp_ieee_inexact 0
		.amdhsa_exception_int_div_zero 0
	.end_amdhsa_kernel
	.section	.text._ZN4vllm18copy_blocks_kernelIN3c108BFloat16EEEvPlS3_PKli,"axG",@progbits,_ZN4vllm18copy_blocks_kernelIN3c108BFloat16EEEvPlS3_PKli,comdat
.Lfunc_end2:
	.size	_ZN4vllm18copy_blocks_kernelIN3c108BFloat16EEEvPlS3_PKli, .Lfunc_end2-_ZN4vllm18copy_blocks_kernelIN3c108BFloat16EEEvPlS3_PKli
                                        ; -- End function
	.set _ZN4vllm18copy_blocks_kernelIN3c108BFloat16EEEvPlS3_PKli.num_vgpr, 8
	.set _ZN4vllm18copy_blocks_kernelIN3c108BFloat16EEEvPlS3_PKli.num_agpr, 0
	.set _ZN4vllm18copy_blocks_kernelIN3c108BFloat16EEEvPlS3_PKli.numbered_sgpr, 18
	.set _ZN4vllm18copy_blocks_kernelIN3c108BFloat16EEEvPlS3_PKli.num_named_barrier, 0
	.set _ZN4vllm18copy_blocks_kernelIN3c108BFloat16EEEvPlS3_PKli.private_seg_size, 0
	.set _ZN4vllm18copy_blocks_kernelIN3c108BFloat16EEEvPlS3_PKli.uses_vcc, 1
	.set _ZN4vllm18copy_blocks_kernelIN3c108BFloat16EEEvPlS3_PKli.uses_flat_scratch, 0
	.set _ZN4vllm18copy_blocks_kernelIN3c108BFloat16EEEvPlS3_PKli.has_dyn_sized_stack, 0
	.set _ZN4vllm18copy_blocks_kernelIN3c108BFloat16EEEvPlS3_PKli.has_recursion, 0
	.set _ZN4vllm18copy_blocks_kernelIN3c108BFloat16EEEvPlS3_PKli.has_indirect_call, 0
	.section	.AMDGPU.csdata,"",@progbits
; Kernel info:
; codeLenInByte = 388
; TotalNumSgprs: 24
; NumVgprs: 8
; NumAgprs: 0
; TotalNumVgprs: 8
; ScratchSize: 0
; MemoryBound: 0
; FloatMode: 240
; IeeeMode: 1
; LDSByteSize: 0 bytes/workgroup (compile time only)
; SGPRBlocks: 2
; VGPRBlocks: 0
; NumSGPRsForWavesPerEU: 24
; NumVGPRsForWavesPerEU: 8
; AccumOffset: 8
; Occupancy: 8
; WaveLimiterHint : 1
; COMPUTE_PGM_RSRC2:SCRATCH_EN: 0
; COMPUTE_PGM_RSRC2:USER_SGPR: 2
; COMPUTE_PGM_RSRC2:TRAP_HANDLER: 0
; COMPUTE_PGM_RSRC2:TGID_X_EN: 1
; COMPUTE_PGM_RSRC2:TGID_Y_EN: 1
; COMPUTE_PGM_RSRC2:TGID_Z_EN: 0
; COMPUTE_PGM_RSRC2:TIDIG_COMP_CNT: 0
; COMPUTE_PGM_RSRC3_GFX90A:ACCUM_OFFSET: 1
; COMPUTE_PGM_RSRC3_GFX90A:TG_SPLIT: 0
	.section	.text._ZN4vllm18copy_blocks_kernelIhEEvPlS1_PKli,"axG",@progbits,_ZN4vllm18copy_blocks_kernelIhEEvPlS1_PKli,comdat
	.protected	_ZN4vllm18copy_blocks_kernelIhEEvPlS1_PKli ; -- Begin function _ZN4vllm18copy_blocks_kernelIhEEvPlS1_PKli
	.globl	_ZN4vllm18copy_blocks_kernelIhEEvPlS1_PKli
	.p2align	8
	.type	_ZN4vllm18copy_blocks_kernelIhEEvPlS1_PKli,@function
_ZN4vllm18copy_blocks_kernelIhEEvPlS1_PKli: ; @_ZN4vllm18copy_blocks_kernelIhEEvPlS1_PKli
; %bb.0:
	s_load_dword s8, s[0:1], 0x18
	s_waitcnt lgkmcnt(0)
	v_cmp_gt_i32_e32 vcc, s8, v0
	s_and_saveexec_b64 s[6:7], vcc
	s_cbranch_execz .LBB3_5
; %bb.1:
	s_load_dwordx4 s[12:15], s[0:1], 0x0
	s_load_dwordx2 s[6:7], s[0:1], 0x10
	s_mov_b32 s4, s3
	s_ashr_i32 s3, s2, 31
	s_lshl_b64 s[2:3], s[2:3], 3
	s_waitcnt lgkmcnt(0)
	s_add_u32 s14, s14, s2
	s_addc_u32 s15, s15, s3
	s_lshl_b32 s4, s4, 1
	s_ashr_i32 s5, s4, 31
	s_lshl_b64 s[4:5], s[4:5], 3
	s_add_u32 s10, s6, s4
	s_addc_u32 s11, s7, s5
	s_load_dwordx4 s[4:7], s[10:11], 0x0
	s_ashr_i32 s9, s8, 31
	v_mov_b32_e32 v2, v0
	s_waitcnt lgkmcnt(0)
	s_mul_i32 s10, s4, s9
	s_mul_hi_u32 s11, s4, s8
	s_mul_i32 s5, s5, s8
	s_mul_i32 s16, s6, s9
	s_add_i32 s9, s11, s10
	s_add_i32 s9, s9, s5
	s_mul_hi_u32 s5, s6, s8
	s_add_i32 s5, s5, s16
	s_mul_i32 s7, s7, s8
	s_add_i32 s10, s5, s7
	s_add_u32 s12, s12, s2
	s_addc_u32 s13, s13, s3
	s_load_dwordx2 s[16:17], s[12:13], 0x0
	s_load_dwordx2 s[2:3], s[14:15], 0x0
	s_mul_i32 s12, s6, s8
	s_load_dword s6, s[0:1], 0x2c
	s_mul_i32 s13, s4, s8
	s_waitcnt lgkmcnt(0)
	s_add_u32 s0, s16, s13
	s_addc_u32 s1, s17, s9
	s_add_u32 s4, s16, s12
	s_addc_u32 s5, s17, s10
	s_and_b32 s11, s6, 0xffff
	s_mov_b64 s[6:7], 0
.LBB3_2:                                ; =>This Inner Loop Header: Depth=1
	v_ashrrev_i32_e32 v3, 31, v2
	v_lshl_add_u64 v[4:5], s[0:1], 0, v[2:3]
	flat_load_ubyte v1, v[4:5]
	v_lshl_add_u64 v[4:5], s[4:5], 0, v[2:3]
	v_add_u32_e32 v2, s11, v2
	v_cmp_le_i32_e32 vcc, s8, v2
	s_or_b64 s[6:7], vcc, s[6:7]
	s_waitcnt vmcnt(0) lgkmcnt(0)
	flat_store_byte v[4:5], v1
	s_andn2_b64 exec, exec, s[6:7]
	s_cbranch_execnz .LBB3_2
; %bb.3:
	s_or_b64 exec, exec, s[6:7]
	s_add_u32 s0, s2, s13
	s_addc_u32 s1, s3, s9
	s_add_u32 s2, s2, s12
	s_addc_u32 s3, s3, s10
	s_mov_b64 s[4:5], 0
.LBB3_4:                                ; =>This Inner Loop Header: Depth=1
	v_ashrrev_i32_e32 v1, 31, v0
	v_lshl_add_u64 v[2:3], s[0:1], 0, v[0:1]
	flat_load_ubyte v4, v[2:3]
	v_lshl_add_u64 v[2:3], s[2:3], 0, v[0:1]
	v_add_u32_e32 v0, s11, v0
	v_cmp_le_i32_e32 vcc, s8, v0
	s_or_b64 s[4:5], vcc, s[4:5]
	s_waitcnt vmcnt(0) lgkmcnt(0)
	flat_store_byte v[2:3], v4
	s_andn2_b64 exec, exec, s[4:5]
	s_cbranch_execnz .LBB3_4
.LBB3_5:
	s_endpgm
	.section	.rodata,"a",@progbits
	.p2align	6, 0x0
	.amdhsa_kernel _ZN4vllm18copy_blocks_kernelIhEEvPlS1_PKli
		.amdhsa_group_segment_fixed_size 0
		.amdhsa_private_segment_fixed_size 0
		.amdhsa_kernarg_size 288
		.amdhsa_user_sgpr_count 2
		.amdhsa_user_sgpr_dispatch_ptr 0
		.amdhsa_user_sgpr_queue_ptr 0
		.amdhsa_user_sgpr_kernarg_segment_ptr 1
		.amdhsa_user_sgpr_dispatch_id 0
		.amdhsa_user_sgpr_kernarg_preload_length 0
		.amdhsa_user_sgpr_kernarg_preload_offset 0
		.amdhsa_user_sgpr_private_segment_size 0
		.amdhsa_uses_dynamic_stack 0
		.amdhsa_enable_private_segment 0
		.amdhsa_system_sgpr_workgroup_id_x 1
		.amdhsa_system_sgpr_workgroup_id_y 1
		.amdhsa_system_sgpr_workgroup_id_z 0
		.amdhsa_system_sgpr_workgroup_info 0
		.amdhsa_system_vgpr_workitem_id 0
		.amdhsa_next_free_vgpr 6
		.amdhsa_next_free_sgpr 18
		.amdhsa_accum_offset 8
		.amdhsa_reserve_vcc 1
		.amdhsa_float_round_mode_32 0
		.amdhsa_float_round_mode_16_64 0
		.amdhsa_float_denorm_mode_32 3
		.amdhsa_float_denorm_mode_16_64 3
		.amdhsa_dx10_clamp 1
		.amdhsa_ieee_mode 1
		.amdhsa_fp16_overflow 0
		.amdhsa_tg_split 0
		.amdhsa_exception_fp_ieee_invalid_op 0
		.amdhsa_exception_fp_denorm_src 0
		.amdhsa_exception_fp_ieee_div_zero 0
		.amdhsa_exception_fp_ieee_overflow 0
		.amdhsa_exception_fp_ieee_underflow 0
		.amdhsa_exception_fp_ieee_inexact 0
		.amdhsa_exception_int_div_zero 0
	.end_amdhsa_kernel
	.section	.text._ZN4vllm18copy_blocks_kernelIhEEvPlS1_PKli,"axG",@progbits,_ZN4vllm18copy_blocks_kernelIhEEvPlS1_PKli,comdat
.Lfunc_end3:
	.size	_ZN4vllm18copy_blocks_kernelIhEEvPlS1_PKli, .Lfunc_end3-_ZN4vllm18copy_blocks_kernelIhEEvPlS1_PKli
                                        ; -- End function
	.set _ZN4vllm18copy_blocks_kernelIhEEvPlS1_PKli.num_vgpr, 6
	.set _ZN4vllm18copy_blocks_kernelIhEEvPlS1_PKli.num_agpr, 0
	.set _ZN4vllm18copy_blocks_kernelIhEEvPlS1_PKli.numbered_sgpr, 18
	.set _ZN4vllm18copy_blocks_kernelIhEEvPlS1_PKli.num_named_barrier, 0
	.set _ZN4vllm18copy_blocks_kernelIhEEvPlS1_PKli.private_seg_size, 0
	.set _ZN4vllm18copy_blocks_kernelIhEEvPlS1_PKli.uses_vcc, 1
	.set _ZN4vllm18copy_blocks_kernelIhEEvPlS1_PKli.uses_flat_scratch, 0
	.set _ZN4vllm18copy_blocks_kernelIhEEvPlS1_PKli.has_dyn_sized_stack, 0
	.set _ZN4vllm18copy_blocks_kernelIhEEvPlS1_PKli.has_recursion, 0
	.set _ZN4vllm18copy_blocks_kernelIhEEvPlS1_PKli.has_indirect_call, 0
	.section	.AMDGPU.csdata,"",@progbits
; Kernel info:
; codeLenInByte = 364
; TotalNumSgprs: 24
; NumVgprs: 6
; NumAgprs: 0
; TotalNumVgprs: 6
; ScratchSize: 0
; MemoryBound: 0
; FloatMode: 240
; IeeeMode: 1
; LDSByteSize: 0 bytes/workgroup (compile time only)
; SGPRBlocks: 2
; VGPRBlocks: 0
; NumSGPRsForWavesPerEU: 24
; NumVGPRsForWavesPerEU: 6
; AccumOffset: 8
; Occupancy: 8
; WaveLimiterHint : 1
; COMPUTE_PGM_RSRC2:SCRATCH_EN: 0
; COMPUTE_PGM_RSRC2:USER_SGPR: 2
; COMPUTE_PGM_RSRC2:TRAP_HANDLER: 0
; COMPUTE_PGM_RSRC2:TGID_X_EN: 1
; COMPUTE_PGM_RSRC2:TGID_Y_EN: 1
; COMPUTE_PGM_RSRC2:TGID_Z_EN: 0
; COMPUTE_PGM_RSRC2:TIDIG_COMP_CNT: 0
; COMPUTE_PGM_RSRC3_GFX90A:ACCUM_OFFSET: 1
; COMPUTE_PGM_RSRC3_GFX90A:TG_SPLIT: 0
	.section	.text._ZN4vllm22copy_blocks_mla_kernelIfEEvPlPKli,"axG",@progbits,_ZN4vllm22copy_blocks_mla_kernelIfEEvPlPKli,comdat
	.protected	_ZN4vllm22copy_blocks_mla_kernelIfEEvPlPKli ; -- Begin function _ZN4vllm22copy_blocks_mla_kernelIfEEvPlPKli
	.globl	_ZN4vllm22copy_blocks_mla_kernelIfEEvPlPKli
	.p2align	8
	.type	_ZN4vllm22copy_blocks_mla_kernelIfEEvPlPKli,@function
_ZN4vllm22copy_blocks_mla_kernelIfEEvPlPKli: ; @_ZN4vllm22copy_blocks_mla_kernelIfEEvPlPKli
; %bb.0:
	s_load_dword s8, s[0:1], 0x10
	s_waitcnt lgkmcnt(0)
	v_cmp_gt_i32_e32 vcc, s8, v0
	s_and_saveexec_b64 s[4:5], vcc
	s_cbranch_execz .LBB4_3
; %bb.1:
	s_load_dwordx4 s[4:7], s[0:1], 0x0
	s_load_dword s9, s[0:1], 0x24
	s_lshl_b32 s10, s3, 1
	s_ashr_i32 s11, s10, 31
	s_lshl_b64 s[0:1], s[10:11], 3
	s_waitcnt lgkmcnt(0)
	s_add_u32 s0, s6, s0
	s_addc_u32 s1, s7, s1
	s_load_dwordx4 s[12:15], s[0:1], 0x0
	s_waitcnt lgkmcnt(0)
	s_mul_i32 s0, s15, s8
	s_mul_hi_u32 s1, s14, s8
	s_mul_i32 s3, s13, s8
	s_mul_hi_u32 s6, s12, s8
	s_add_i32 s7, s1, s0
	s_add_i32 s1, s6, s3
	s_ashr_i32 s3, s2, 31
	s_lshl_b64 s[2:3], s[2:3], 3
	s_add_u32 s2, s4, s2
	s_addc_u32 s3, s5, s3
	s_load_dwordx2 s[2:3], s[2:3], 0x0
	s_mul_i32 s0, s12, s8
	s_lshl_b64 s[0:1], s[0:1], 2
	s_mul_i32 s6, s14, s8
	s_waitcnt lgkmcnt(0)
	s_add_u32 s0, s2, s0
	s_addc_u32 s1, s3, s1
	s_lshl_b64 s[4:5], s[6:7], 2
	s_add_u32 s2, s2, s4
	s_addc_u32 s3, s3, s5
	s_and_b32 s6, s9, 0xffff
	s_mov_b64 s[4:5], 0
.LBB4_2:                                ; =>This Inner Loop Header: Depth=1
	v_ashrrev_i32_e32 v1, 31, v0
	v_lshlrev_b64 v[2:3], 2, v[0:1]
	v_lshl_add_u64 v[4:5], s[0:1], 0, v[2:3]
	flat_load_dword v1, v[4:5]
	v_add_u32_e32 v0, s6, v0
	v_cmp_le_i32_e32 vcc, s8, v0
	v_lshl_add_u64 v[2:3], s[2:3], 0, v[2:3]
	s_or_b64 s[4:5], vcc, s[4:5]
	s_waitcnt vmcnt(0) lgkmcnt(0)
	flat_store_dword v[2:3], v1
	s_andn2_b64 exec, exec, s[4:5]
	s_cbranch_execnz .LBB4_2
.LBB4_3:
	s_endpgm
	.section	.rodata,"a",@progbits
	.p2align	6, 0x0
	.amdhsa_kernel _ZN4vllm22copy_blocks_mla_kernelIfEEvPlPKli
		.amdhsa_group_segment_fixed_size 0
		.amdhsa_private_segment_fixed_size 0
		.amdhsa_kernarg_size 280
		.amdhsa_user_sgpr_count 2
		.amdhsa_user_sgpr_dispatch_ptr 0
		.amdhsa_user_sgpr_queue_ptr 0
		.amdhsa_user_sgpr_kernarg_segment_ptr 1
		.amdhsa_user_sgpr_dispatch_id 0
		.amdhsa_user_sgpr_kernarg_preload_length 0
		.amdhsa_user_sgpr_kernarg_preload_offset 0
		.amdhsa_user_sgpr_private_segment_size 0
		.amdhsa_uses_dynamic_stack 0
		.amdhsa_enable_private_segment 0
		.amdhsa_system_sgpr_workgroup_id_x 1
		.amdhsa_system_sgpr_workgroup_id_y 1
		.amdhsa_system_sgpr_workgroup_id_z 0
		.amdhsa_system_sgpr_workgroup_info 0
		.amdhsa_system_vgpr_workitem_id 0
		.amdhsa_next_free_vgpr 6
		.amdhsa_next_free_sgpr 16
		.amdhsa_accum_offset 8
		.amdhsa_reserve_vcc 1
		.amdhsa_float_round_mode_32 0
		.amdhsa_float_round_mode_16_64 0
		.amdhsa_float_denorm_mode_32 3
		.amdhsa_float_denorm_mode_16_64 3
		.amdhsa_dx10_clamp 1
		.amdhsa_ieee_mode 1
		.amdhsa_fp16_overflow 0
		.amdhsa_tg_split 0
		.amdhsa_exception_fp_ieee_invalid_op 0
		.amdhsa_exception_fp_denorm_src 0
		.amdhsa_exception_fp_ieee_div_zero 0
		.amdhsa_exception_fp_ieee_overflow 0
		.amdhsa_exception_fp_ieee_underflow 0
		.amdhsa_exception_fp_ieee_inexact 0
		.amdhsa_exception_int_div_zero 0
	.end_amdhsa_kernel
	.section	.text._ZN4vllm22copy_blocks_mla_kernelIfEEvPlPKli,"axG",@progbits,_ZN4vllm22copy_blocks_mla_kernelIfEEvPlPKli,comdat
.Lfunc_end4:
	.size	_ZN4vllm22copy_blocks_mla_kernelIfEEvPlPKli, .Lfunc_end4-_ZN4vllm22copy_blocks_mla_kernelIfEEvPlPKli
                                        ; -- End function
	.set _ZN4vllm22copy_blocks_mla_kernelIfEEvPlPKli.num_vgpr, 6
	.set _ZN4vllm22copy_blocks_mla_kernelIfEEvPlPKli.num_agpr, 0
	.set _ZN4vllm22copy_blocks_mla_kernelIfEEvPlPKli.numbered_sgpr, 16
	.set _ZN4vllm22copy_blocks_mla_kernelIfEEvPlPKli.num_named_barrier, 0
	.set _ZN4vllm22copy_blocks_mla_kernelIfEEvPlPKli.private_seg_size, 0
	.set _ZN4vllm22copy_blocks_mla_kernelIfEEvPlPKli.uses_vcc, 1
	.set _ZN4vllm22copy_blocks_mla_kernelIfEEvPlPKli.uses_flat_scratch, 0
	.set _ZN4vllm22copy_blocks_mla_kernelIfEEvPlPKli.has_dyn_sized_stack, 0
	.set _ZN4vllm22copy_blocks_mla_kernelIfEEvPlPKli.has_recursion, 0
	.set _ZN4vllm22copy_blocks_mla_kernelIfEEvPlPKli.has_indirect_call, 0
	.section	.AMDGPU.csdata,"",@progbits
; Kernel info:
; codeLenInByte = 244
; TotalNumSgprs: 22
; NumVgprs: 6
; NumAgprs: 0
; TotalNumVgprs: 6
; ScratchSize: 0
; MemoryBound: 0
; FloatMode: 240
; IeeeMode: 1
; LDSByteSize: 0 bytes/workgroup (compile time only)
; SGPRBlocks: 2
; VGPRBlocks: 0
; NumSGPRsForWavesPerEU: 22
; NumVGPRsForWavesPerEU: 6
; AccumOffset: 8
; Occupancy: 8
; WaveLimiterHint : 1
; COMPUTE_PGM_RSRC2:SCRATCH_EN: 0
; COMPUTE_PGM_RSRC2:USER_SGPR: 2
; COMPUTE_PGM_RSRC2:TRAP_HANDLER: 0
; COMPUTE_PGM_RSRC2:TGID_X_EN: 1
; COMPUTE_PGM_RSRC2:TGID_Y_EN: 1
; COMPUTE_PGM_RSRC2:TGID_Z_EN: 0
; COMPUTE_PGM_RSRC2:TIDIG_COMP_CNT: 0
; COMPUTE_PGM_RSRC3_GFX90A:ACCUM_OFFSET: 1
; COMPUTE_PGM_RSRC3_GFX90A:TG_SPLIT: 0
	.section	.text._ZN4vllm22copy_blocks_mla_kernelIN3c104HalfEEEvPlPKli,"axG",@progbits,_ZN4vllm22copy_blocks_mla_kernelIN3c104HalfEEEvPlPKli,comdat
	.protected	_ZN4vllm22copy_blocks_mla_kernelIN3c104HalfEEEvPlPKli ; -- Begin function _ZN4vllm22copy_blocks_mla_kernelIN3c104HalfEEEvPlPKli
	.globl	_ZN4vllm22copy_blocks_mla_kernelIN3c104HalfEEEvPlPKli
	.p2align	8
	.type	_ZN4vllm22copy_blocks_mla_kernelIN3c104HalfEEEvPlPKli,@function
_ZN4vllm22copy_blocks_mla_kernelIN3c104HalfEEEvPlPKli: ; @_ZN4vllm22copy_blocks_mla_kernelIN3c104HalfEEEvPlPKli
; %bb.0:
	s_load_dword s8, s[0:1], 0x10
	s_waitcnt lgkmcnt(0)
	v_cmp_gt_i32_e32 vcc, s8, v0
	s_and_saveexec_b64 s[4:5], vcc
	s_cbranch_execz .LBB5_3
; %bb.1:
	s_load_dwordx4 s[4:7], s[0:1], 0x0
	s_load_dword s9, s[0:1], 0x24
	s_lshl_b32 s10, s3, 1
	s_ashr_i32 s11, s10, 31
	s_lshl_b64 s[0:1], s[10:11], 3
	s_waitcnt lgkmcnt(0)
	s_add_u32 s0, s6, s0
	s_addc_u32 s1, s7, s1
	s_load_dwordx4 s[12:15], s[0:1], 0x0
	s_waitcnt lgkmcnt(0)
	s_mul_i32 s0, s15, s8
	s_mul_hi_u32 s1, s14, s8
	s_mul_i32 s3, s13, s8
	s_mul_hi_u32 s6, s12, s8
	s_add_i32 s7, s1, s0
	s_add_i32 s1, s6, s3
	s_ashr_i32 s3, s2, 31
	s_lshl_b64 s[2:3], s[2:3], 3
	s_add_u32 s2, s4, s2
	s_addc_u32 s3, s5, s3
	s_load_dwordx2 s[2:3], s[2:3], 0x0
	s_mul_i32 s0, s12, s8
	s_lshl_b64 s[0:1], s[0:1], 1
	s_mul_i32 s6, s14, s8
	s_waitcnt lgkmcnt(0)
	s_add_u32 s0, s2, s0
	s_addc_u32 s1, s3, s1
	s_lshl_b64 s[4:5], s[6:7], 1
	s_add_u32 s2, s2, s4
	s_addc_u32 s3, s3, s5
	s_and_b32 s6, s9, 0xffff
	s_mov_b64 s[4:5], 0
.LBB5_2:                                ; =>This Inner Loop Header: Depth=1
	v_ashrrev_i32_e32 v1, 31, v0
	v_lshlrev_b64 v[2:3], 1, v[0:1]
	v_lshl_add_u64 v[4:5], s[0:1], 0, v[2:3]
	flat_load_ushort v1, v[4:5]
	v_add_u32_e32 v0, s6, v0
	v_cmp_le_i32_e32 vcc, s8, v0
	v_lshl_add_u64 v[2:3], s[2:3], 0, v[2:3]
	s_or_b64 s[4:5], vcc, s[4:5]
	s_waitcnt vmcnt(0) lgkmcnt(0)
	flat_store_short v[2:3], v1
	s_andn2_b64 exec, exec, s[4:5]
	s_cbranch_execnz .LBB5_2
.LBB5_3:
	s_endpgm
	.section	.rodata,"a",@progbits
	.p2align	6, 0x0
	.amdhsa_kernel _ZN4vllm22copy_blocks_mla_kernelIN3c104HalfEEEvPlPKli
		.amdhsa_group_segment_fixed_size 0
		.amdhsa_private_segment_fixed_size 0
		.amdhsa_kernarg_size 280
		.amdhsa_user_sgpr_count 2
		.amdhsa_user_sgpr_dispatch_ptr 0
		.amdhsa_user_sgpr_queue_ptr 0
		.amdhsa_user_sgpr_kernarg_segment_ptr 1
		.amdhsa_user_sgpr_dispatch_id 0
		.amdhsa_user_sgpr_kernarg_preload_length 0
		.amdhsa_user_sgpr_kernarg_preload_offset 0
		.amdhsa_user_sgpr_private_segment_size 0
		.amdhsa_uses_dynamic_stack 0
		.amdhsa_enable_private_segment 0
		.amdhsa_system_sgpr_workgroup_id_x 1
		.amdhsa_system_sgpr_workgroup_id_y 1
		.amdhsa_system_sgpr_workgroup_id_z 0
		.amdhsa_system_sgpr_workgroup_info 0
		.amdhsa_system_vgpr_workitem_id 0
		.amdhsa_next_free_vgpr 6
		.amdhsa_next_free_sgpr 16
		.amdhsa_accum_offset 8
		.amdhsa_reserve_vcc 1
		.amdhsa_float_round_mode_32 0
		.amdhsa_float_round_mode_16_64 0
		.amdhsa_float_denorm_mode_32 3
		.amdhsa_float_denorm_mode_16_64 3
		.amdhsa_dx10_clamp 1
		.amdhsa_ieee_mode 1
		.amdhsa_fp16_overflow 0
		.amdhsa_tg_split 0
		.amdhsa_exception_fp_ieee_invalid_op 0
		.amdhsa_exception_fp_denorm_src 0
		.amdhsa_exception_fp_ieee_div_zero 0
		.amdhsa_exception_fp_ieee_overflow 0
		.amdhsa_exception_fp_ieee_underflow 0
		.amdhsa_exception_fp_ieee_inexact 0
		.amdhsa_exception_int_div_zero 0
	.end_amdhsa_kernel
	.section	.text._ZN4vllm22copy_blocks_mla_kernelIN3c104HalfEEEvPlPKli,"axG",@progbits,_ZN4vllm22copy_blocks_mla_kernelIN3c104HalfEEEvPlPKli,comdat
.Lfunc_end5:
	.size	_ZN4vllm22copy_blocks_mla_kernelIN3c104HalfEEEvPlPKli, .Lfunc_end5-_ZN4vllm22copy_blocks_mla_kernelIN3c104HalfEEEvPlPKli
                                        ; -- End function
	.set _ZN4vllm22copy_blocks_mla_kernelIN3c104HalfEEEvPlPKli.num_vgpr, 6
	.set _ZN4vllm22copy_blocks_mla_kernelIN3c104HalfEEEvPlPKli.num_agpr, 0
	.set _ZN4vllm22copy_blocks_mla_kernelIN3c104HalfEEEvPlPKli.numbered_sgpr, 16
	.set _ZN4vllm22copy_blocks_mla_kernelIN3c104HalfEEEvPlPKli.num_named_barrier, 0
	.set _ZN4vllm22copy_blocks_mla_kernelIN3c104HalfEEEvPlPKli.private_seg_size, 0
	.set _ZN4vllm22copy_blocks_mla_kernelIN3c104HalfEEEvPlPKli.uses_vcc, 1
	.set _ZN4vllm22copy_blocks_mla_kernelIN3c104HalfEEEvPlPKli.uses_flat_scratch, 0
	.set _ZN4vllm22copy_blocks_mla_kernelIN3c104HalfEEEvPlPKli.has_dyn_sized_stack, 0
	.set _ZN4vllm22copy_blocks_mla_kernelIN3c104HalfEEEvPlPKli.has_recursion, 0
	.set _ZN4vllm22copy_blocks_mla_kernelIN3c104HalfEEEvPlPKli.has_indirect_call, 0
	.section	.AMDGPU.csdata,"",@progbits
; Kernel info:
; codeLenInByte = 244
; TotalNumSgprs: 22
; NumVgprs: 6
; NumAgprs: 0
; TotalNumVgprs: 6
; ScratchSize: 0
; MemoryBound: 0
; FloatMode: 240
; IeeeMode: 1
; LDSByteSize: 0 bytes/workgroup (compile time only)
; SGPRBlocks: 2
; VGPRBlocks: 0
; NumSGPRsForWavesPerEU: 22
; NumVGPRsForWavesPerEU: 6
; AccumOffset: 8
; Occupancy: 8
; WaveLimiterHint : 1
; COMPUTE_PGM_RSRC2:SCRATCH_EN: 0
; COMPUTE_PGM_RSRC2:USER_SGPR: 2
; COMPUTE_PGM_RSRC2:TRAP_HANDLER: 0
; COMPUTE_PGM_RSRC2:TGID_X_EN: 1
; COMPUTE_PGM_RSRC2:TGID_Y_EN: 1
; COMPUTE_PGM_RSRC2:TGID_Z_EN: 0
; COMPUTE_PGM_RSRC2:TIDIG_COMP_CNT: 0
; COMPUTE_PGM_RSRC3_GFX90A:ACCUM_OFFSET: 1
; COMPUTE_PGM_RSRC3_GFX90A:TG_SPLIT: 0
	.section	.text._ZN4vllm22copy_blocks_mla_kernelIN3c108BFloat16EEEvPlPKli,"axG",@progbits,_ZN4vllm22copy_blocks_mla_kernelIN3c108BFloat16EEEvPlPKli,comdat
	.protected	_ZN4vllm22copy_blocks_mla_kernelIN3c108BFloat16EEEvPlPKli ; -- Begin function _ZN4vllm22copy_blocks_mla_kernelIN3c108BFloat16EEEvPlPKli
	.globl	_ZN4vllm22copy_blocks_mla_kernelIN3c108BFloat16EEEvPlPKli
	.p2align	8
	.type	_ZN4vllm22copy_blocks_mla_kernelIN3c108BFloat16EEEvPlPKli,@function
_ZN4vllm22copy_blocks_mla_kernelIN3c108BFloat16EEEvPlPKli: ; @_ZN4vllm22copy_blocks_mla_kernelIN3c108BFloat16EEEvPlPKli
; %bb.0:
	s_load_dword s8, s[0:1], 0x10
	s_waitcnt lgkmcnt(0)
	v_cmp_gt_i32_e32 vcc, s8, v0
	s_and_saveexec_b64 s[4:5], vcc
	s_cbranch_execz .LBB6_3
; %bb.1:
	s_load_dwordx4 s[4:7], s[0:1], 0x0
	s_load_dword s9, s[0:1], 0x24
	s_lshl_b32 s10, s3, 1
	s_ashr_i32 s11, s10, 31
	s_lshl_b64 s[0:1], s[10:11], 3
	s_waitcnt lgkmcnt(0)
	s_add_u32 s0, s6, s0
	s_addc_u32 s1, s7, s1
	s_load_dwordx4 s[12:15], s[0:1], 0x0
	s_waitcnt lgkmcnt(0)
	s_mul_i32 s0, s15, s8
	s_mul_hi_u32 s1, s14, s8
	s_mul_i32 s3, s13, s8
	s_mul_hi_u32 s6, s12, s8
	s_add_i32 s7, s1, s0
	s_add_i32 s1, s6, s3
	s_ashr_i32 s3, s2, 31
	s_lshl_b64 s[2:3], s[2:3], 3
	s_add_u32 s2, s4, s2
	s_addc_u32 s3, s5, s3
	s_load_dwordx2 s[2:3], s[2:3], 0x0
	s_mul_i32 s0, s12, s8
	s_lshl_b64 s[0:1], s[0:1], 1
	s_mul_i32 s6, s14, s8
	s_waitcnt lgkmcnt(0)
	s_add_u32 s0, s2, s0
	s_addc_u32 s1, s3, s1
	s_lshl_b64 s[4:5], s[6:7], 1
	s_add_u32 s2, s2, s4
	s_addc_u32 s3, s3, s5
	s_and_b32 s6, s9, 0xffff
	s_mov_b64 s[4:5], 0
.LBB6_2:                                ; =>This Inner Loop Header: Depth=1
	v_ashrrev_i32_e32 v1, 31, v0
	v_lshlrev_b64 v[2:3], 1, v[0:1]
	v_lshl_add_u64 v[4:5], s[0:1], 0, v[2:3]
	flat_load_ushort v1, v[4:5]
	v_add_u32_e32 v0, s6, v0
	v_cmp_le_i32_e32 vcc, s8, v0
	v_lshl_add_u64 v[2:3], s[2:3], 0, v[2:3]
	s_or_b64 s[4:5], vcc, s[4:5]
	s_waitcnt vmcnt(0) lgkmcnt(0)
	flat_store_short v[2:3], v1
	s_andn2_b64 exec, exec, s[4:5]
	s_cbranch_execnz .LBB6_2
.LBB6_3:
	s_endpgm
	.section	.rodata,"a",@progbits
	.p2align	6, 0x0
	.amdhsa_kernel _ZN4vllm22copy_blocks_mla_kernelIN3c108BFloat16EEEvPlPKli
		.amdhsa_group_segment_fixed_size 0
		.amdhsa_private_segment_fixed_size 0
		.amdhsa_kernarg_size 280
		.amdhsa_user_sgpr_count 2
		.amdhsa_user_sgpr_dispatch_ptr 0
		.amdhsa_user_sgpr_queue_ptr 0
		.amdhsa_user_sgpr_kernarg_segment_ptr 1
		.amdhsa_user_sgpr_dispatch_id 0
		.amdhsa_user_sgpr_kernarg_preload_length 0
		.amdhsa_user_sgpr_kernarg_preload_offset 0
		.amdhsa_user_sgpr_private_segment_size 0
		.amdhsa_uses_dynamic_stack 0
		.amdhsa_enable_private_segment 0
		.amdhsa_system_sgpr_workgroup_id_x 1
		.amdhsa_system_sgpr_workgroup_id_y 1
		.amdhsa_system_sgpr_workgroup_id_z 0
		.amdhsa_system_sgpr_workgroup_info 0
		.amdhsa_system_vgpr_workitem_id 0
		.amdhsa_next_free_vgpr 6
		.amdhsa_next_free_sgpr 16
		.amdhsa_accum_offset 8
		.amdhsa_reserve_vcc 1
		.amdhsa_float_round_mode_32 0
		.amdhsa_float_round_mode_16_64 0
		.amdhsa_float_denorm_mode_32 3
		.amdhsa_float_denorm_mode_16_64 3
		.amdhsa_dx10_clamp 1
		.amdhsa_ieee_mode 1
		.amdhsa_fp16_overflow 0
		.amdhsa_tg_split 0
		.amdhsa_exception_fp_ieee_invalid_op 0
		.amdhsa_exception_fp_denorm_src 0
		.amdhsa_exception_fp_ieee_div_zero 0
		.amdhsa_exception_fp_ieee_overflow 0
		.amdhsa_exception_fp_ieee_underflow 0
		.amdhsa_exception_fp_ieee_inexact 0
		.amdhsa_exception_int_div_zero 0
	.end_amdhsa_kernel
	.section	.text._ZN4vllm22copy_blocks_mla_kernelIN3c108BFloat16EEEvPlPKli,"axG",@progbits,_ZN4vllm22copy_blocks_mla_kernelIN3c108BFloat16EEEvPlPKli,comdat
.Lfunc_end6:
	.size	_ZN4vllm22copy_blocks_mla_kernelIN3c108BFloat16EEEvPlPKli, .Lfunc_end6-_ZN4vllm22copy_blocks_mla_kernelIN3c108BFloat16EEEvPlPKli
                                        ; -- End function
	.set _ZN4vllm22copy_blocks_mla_kernelIN3c108BFloat16EEEvPlPKli.num_vgpr, 6
	.set _ZN4vllm22copy_blocks_mla_kernelIN3c108BFloat16EEEvPlPKli.num_agpr, 0
	.set _ZN4vllm22copy_blocks_mla_kernelIN3c108BFloat16EEEvPlPKli.numbered_sgpr, 16
	.set _ZN4vllm22copy_blocks_mla_kernelIN3c108BFloat16EEEvPlPKli.num_named_barrier, 0
	.set _ZN4vllm22copy_blocks_mla_kernelIN3c108BFloat16EEEvPlPKli.private_seg_size, 0
	.set _ZN4vllm22copy_blocks_mla_kernelIN3c108BFloat16EEEvPlPKli.uses_vcc, 1
	.set _ZN4vllm22copy_blocks_mla_kernelIN3c108BFloat16EEEvPlPKli.uses_flat_scratch, 0
	.set _ZN4vllm22copy_blocks_mla_kernelIN3c108BFloat16EEEvPlPKli.has_dyn_sized_stack, 0
	.set _ZN4vllm22copy_blocks_mla_kernelIN3c108BFloat16EEEvPlPKli.has_recursion, 0
	.set _ZN4vllm22copy_blocks_mla_kernelIN3c108BFloat16EEEvPlPKli.has_indirect_call, 0
	.section	.AMDGPU.csdata,"",@progbits
; Kernel info:
; codeLenInByte = 244
; TotalNumSgprs: 22
; NumVgprs: 6
; NumAgprs: 0
; TotalNumVgprs: 6
; ScratchSize: 0
; MemoryBound: 0
; FloatMode: 240
; IeeeMode: 1
; LDSByteSize: 0 bytes/workgroup (compile time only)
; SGPRBlocks: 2
; VGPRBlocks: 0
; NumSGPRsForWavesPerEU: 22
; NumVGPRsForWavesPerEU: 6
; AccumOffset: 8
; Occupancy: 8
; WaveLimiterHint : 1
; COMPUTE_PGM_RSRC2:SCRATCH_EN: 0
; COMPUTE_PGM_RSRC2:USER_SGPR: 2
; COMPUTE_PGM_RSRC2:TRAP_HANDLER: 0
; COMPUTE_PGM_RSRC2:TGID_X_EN: 1
; COMPUTE_PGM_RSRC2:TGID_Y_EN: 1
; COMPUTE_PGM_RSRC2:TGID_Z_EN: 0
; COMPUTE_PGM_RSRC2:TIDIG_COMP_CNT: 0
; COMPUTE_PGM_RSRC3_GFX90A:ACCUM_OFFSET: 1
; COMPUTE_PGM_RSRC3_GFX90A:TG_SPLIT: 0
	.section	.text._ZN4vllm22copy_blocks_mla_kernelIhEEvPlPKli,"axG",@progbits,_ZN4vllm22copy_blocks_mla_kernelIhEEvPlPKli,comdat
	.protected	_ZN4vllm22copy_blocks_mla_kernelIhEEvPlPKli ; -- Begin function _ZN4vllm22copy_blocks_mla_kernelIhEEvPlPKli
	.globl	_ZN4vllm22copy_blocks_mla_kernelIhEEvPlPKli
	.p2align	8
	.type	_ZN4vllm22copy_blocks_mla_kernelIhEEvPlPKli,@function
_ZN4vllm22copy_blocks_mla_kernelIhEEvPlPKli: ; @_ZN4vllm22copy_blocks_mla_kernelIhEEvPlPKli
; %bb.0:
	s_load_dword s8, s[0:1], 0x10
	s_waitcnt lgkmcnt(0)
	v_cmp_gt_i32_e32 vcc, s8, v0
	s_and_saveexec_b64 s[4:5], vcc
	s_cbranch_execz .LBB7_3
; %bb.1:
	s_load_dwordx4 s[4:7], s[0:1], 0x0
	s_load_dword s9, s[0:1], 0x24
	s_lshl_b32 s10, s3, 1
	s_ashr_i32 s11, s10, 31
	s_lshl_b64 s[0:1], s[10:11], 3
	s_waitcnt lgkmcnt(0)
	s_add_u32 s0, s6, s0
	s_addc_u32 s1, s7, s1
	s_load_dwordx4 s[12:15], s[0:1], 0x0
	s_waitcnt lgkmcnt(0)
	s_mul_i32 s3, s13, s8
	s_mul_hi_u32 s6, s12, s8
	s_mul_i32 s0, s15, s8
	s_mul_hi_u32 s1, s14, s8
	s_add_i32 s6, s6, s3
	s_ashr_i32 s3, s2, 31
	s_add_i32 s7, s1, s0
	s_lshl_b64 s[0:1], s[2:3], 3
	s_add_u32 s0, s4, s0
	s_addc_u32 s1, s5, s1
	s_load_dwordx2 s[2:3], s[0:1], 0x0
	s_mul_i32 s0, s12, s8
	s_mul_i32 s4, s14, s8
	s_waitcnt lgkmcnt(0)
	s_add_u32 s0, s2, s0
	s_addc_u32 s1, s3, s6
	s_add_u32 s2, s2, s4
	s_addc_u32 s3, s3, s7
	s_and_b32 s6, s9, 0xffff
	s_mov_b64 s[4:5], 0
.LBB7_2:                                ; =>This Inner Loop Header: Depth=1
	v_ashrrev_i32_e32 v1, 31, v0
	v_lshl_add_u64 v[2:3], s[0:1], 0, v[0:1]
	flat_load_ubyte v4, v[2:3]
	v_lshl_add_u64 v[2:3], s[2:3], 0, v[0:1]
	v_add_u32_e32 v0, s6, v0
	v_cmp_le_i32_e32 vcc, s8, v0
	s_or_b64 s[4:5], vcc, s[4:5]
	s_waitcnt vmcnt(0) lgkmcnt(0)
	flat_store_byte v[2:3], v4
	s_andn2_b64 exec, exec, s[4:5]
	s_cbranch_execnz .LBB7_2
.LBB7_3:
	s_endpgm
	.section	.rodata,"a",@progbits
	.p2align	6, 0x0
	.amdhsa_kernel _ZN4vllm22copy_blocks_mla_kernelIhEEvPlPKli
		.amdhsa_group_segment_fixed_size 0
		.amdhsa_private_segment_fixed_size 0
		.amdhsa_kernarg_size 280
		.amdhsa_user_sgpr_count 2
		.amdhsa_user_sgpr_dispatch_ptr 0
		.amdhsa_user_sgpr_queue_ptr 0
		.amdhsa_user_sgpr_kernarg_segment_ptr 1
		.amdhsa_user_sgpr_dispatch_id 0
		.amdhsa_user_sgpr_kernarg_preload_length 0
		.amdhsa_user_sgpr_kernarg_preload_offset 0
		.amdhsa_user_sgpr_private_segment_size 0
		.amdhsa_uses_dynamic_stack 0
		.amdhsa_enable_private_segment 0
		.amdhsa_system_sgpr_workgroup_id_x 1
		.amdhsa_system_sgpr_workgroup_id_y 1
		.amdhsa_system_sgpr_workgroup_id_z 0
		.amdhsa_system_sgpr_workgroup_info 0
		.amdhsa_system_vgpr_workitem_id 0
		.amdhsa_next_free_vgpr 5
		.amdhsa_next_free_sgpr 16
		.amdhsa_accum_offset 8
		.amdhsa_reserve_vcc 1
		.amdhsa_float_round_mode_32 0
		.amdhsa_float_round_mode_16_64 0
		.amdhsa_float_denorm_mode_32 3
		.amdhsa_float_denorm_mode_16_64 3
		.amdhsa_dx10_clamp 1
		.amdhsa_ieee_mode 1
		.amdhsa_fp16_overflow 0
		.amdhsa_tg_split 0
		.amdhsa_exception_fp_ieee_invalid_op 0
		.amdhsa_exception_fp_denorm_src 0
		.amdhsa_exception_fp_ieee_div_zero 0
		.amdhsa_exception_fp_ieee_overflow 0
		.amdhsa_exception_fp_ieee_underflow 0
		.amdhsa_exception_fp_ieee_inexact 0
		.amdhsa_exception_int_div_zero 0
	.end_amdhsa_kernel
	.section	.text._ZN4vllm22copy_blocks_mla_kernelIhEEvPlPKli,"axG",@progbits,_ZN4vllm22copy_blocks_mla_kernelIhEEvPlPKli,comdat
.Lfunc_end7:
	.size	_ZN4vllm22copy_blocks_mla_kernelIhEEvPlPKli, .Lfunc_end7-_ZN4vllm22copy_blocks_mla_kernelIhEEvPlPKli
                                        ; -- End function
	.set _ZN4vllm22copy_blocks_mla_kernelIhEEvPlPKli.num_vgpr, 5
	.set _ZN4vllm22copy_blocks_mla_kernelIhEEvPlPKli.num_agpr, 0
	.set _ZN4vllm22copy_blocks_mla_kernelIhEEvPlPKli.numbered_sgpr, 16
	.set _ZN4vllm22copy_blocks_mla_kernelIhEEvPlPKli.num_named_barrier, 0
	.set _ZN4vllm22copy_blocks_mla_kernelIhEEvPlPKli.private_seg_size, 0
	.set _ZN4vllm22copy_blocks_mla_kernelIhEEvPlPKli.uses_vcc, 1
	.set _ZN4vllm22copy_blocks_mla_kernelIhEEvPlPKli.uses_flat_scratch, 0
	.set _ZN4vllm22copy_blocks_mla_kernelIhEEvPlPKli.has_dyn_sized_stack, 0
	.set _ZN4vllm22copy_blocks_mla_kernelIhEEvPlPKli.has_recursion, 0
	.set _ZN4vllm22copy_blocks_mla_kernelIhEEvPlPKli.has_indirect_call, 0
	.section	.AMDGPU.csdata,"",@progbits
; Kernel info:
; codeLenInByte = 228
; TotalNumSgprs: 22
; NumVgprs: 5
; NumAgprs: 0
; TotalNumVgprs: 5
; ScratchSize: 0
; MemoryBound: 0
; FloatMode: 240
; IeeeMode: 1
; LDSByteSize: 0 bytes/workgroup (compile time only)
; SGPRBlocks: 2
; VGPRBlocks: 0
; NumSGPRsForWavesPerEU: 22
; NumVGPRsForWavesPerEU: 5
; AccumOffset: 8
; Occupancy: 8
; WaveLimiterHint : 1
; COMPUTE_PGM_RSRC2:SCRATCH_EN: 0
; COMPUTE_PGM_RSRC2:USER_SGPR: 2
; COMPUTE_PGM_RSRC2:TRAP_HANDLER: 0
; COMPUTE_PGM_RSRC2:TGID_X_EN: 1
; COMPUTE_PGM_RSRC2:TGID_Y_EN: 1
; COMPUTE_PGM_RSRC2:TGID_Z_EN: 0
; COMPUTE_PGM_RSRC2:TIDIG_COMP_CNT: 0
; COMPUTE_PGM_RSRC3_GFX90A:ACCUM_OFFSET: 1
; COMPUTE_PGM_RSRC3_GFX90A:TG_SPLIT: 0
	.section	.text._ZN4vllm24reshape_and_cache_kernelIffLNS_18Fp8KVCacheDataTypeE0EEEvPKT_S4_PT0_S6_PKliiiiiiPKfSA_,"axG",@progbits,_ZN4vllm24reshape_and_cache_kernelIffLNS_18Fp8KVCacheDataTypeE0EEEvPKT_S4_PT0_S6_PKliiiiiiPKfSA_,comdat
	.protected	_ZN4vllm24reshape_and_cache_kernelIffLNS_18Fp8KVCacheDataTypeE0EEEvPKT_S4_PT0_S6_PKliiiiiiPKfSA_ ; -- Begin function _ZN4vllm24reshape_and_cache_kernelIffLNS_18Fp8KVCacheDataTypeE0EEEvPKT_S4_PT0_S6_PKliiiiiiPKfSA_
	.globl	_ZN4vllm24reshape_and_cache_kernelIffLNS_18Fp8KVCacheDataTypeE0EEEvPKT_S4_PT0_S6_PKliiiiiiPKfSA_
	.p2align	8
	.type	_ZN4vllm24reshape_and_cache_kernelIffLNS_18Fp8KVCacheDataTypeE0EEEvPKT_S4_PT0_S6_PKliiiiiiPKfSA_,@function
_ZN4vllm24reshape_and_cache_kernelIffLNS_18Fp8KVCacheDataTypeE0EEEvPKT_S4_PT0_S6_PKliiiiiiPKfSA_: ; @_ZN4vllm24reshape_and_cache_kernelIffLNS_18Fp8KVCacheDataTypeE0EEEvPKT_S4_PT0_S6_PKliiiiiiPKfSA_
; %bb.0:
	s_load_dwordx2 s[4:5], s[0:1], 0x20
	s_mov_b32 s3, 0
	s_lshl_b64 s[6:7], s[2:3], 3
	s_waitcnt lgkmcnt(0)
	s_add_u32 s4, s4, s6
	s_addc_u32 s5, s5, s7
	s_load_dwordx2 s[18:19], s[4:5], 0x0
	s_waitcnt lgkmcnt(0)
	v_cmp_lt_i64_e64 s[4:5], s[18:19], 0
	s_and_b64 vcc, exec, s[4:5]
	s_cbranch_vccnz .LBB8_7
; %bb.1:
	s_load_dwordx2 s[16:17], s[0:1], 0x38
	s_load_dwordx4 s[12:15], s[0:1], 0x28
	s_waitcnt lgkmcnt(0)
	s_ashr_i32 s21, s16, 31
	s_mov_b32 s20, s16
	s_or_b64 s[4:5], s[18:19], s[20:21]
	s_mov_b32 s4, s3
	s_cmp_lg_u64 s[4:5], 0
	s_cbranch_scc0 .LBB8_8
; %bb.2:
	s_ashr_i32 s4, s21, 31
	s_add_u32 s6, s20, s4
	s_mov_b32 s5, s4
	s_addc_u32 s7, s21, s4
	s_xor_b64 s[8:9], s[6:7], s[4:5]
	v_cvt_f32_u32_e32 v1, s8
	v_cvt_f32_u32_e32 v2, s9
	s_sub_u32 s3, 0, s8
	s_subb_u32 s22, 0, s9
	v_fmamk_f32 v1, v2, 0x4f800000, v1
	v_rcp_f32_e32 v1, v1
	s_nop 0
	v_mul_f32_e32 v1, 0x5f7ffffc, v1
	v_mul_f32_e32 v2, 0x2f800000, v1
	v_trunc_f32_e32 v2, v2
	v_fmamk_f32 v1, v2, 0xcf800000, v1
	v_cvt_u32_f32_e32 v2, v2
	v_cvt_u32_f32_e32 v1, v1
	v_readfirstlane_b32 s23, v2
	v_readfirstlane_b32 s10, v1
	s_mul_i32 s11, s3, s23
	s_mul_hi_u32 s25, s3, s10
	s_mul_i32 s24, s22, s10
	s_add_i32 s11, s25, s11
	s_add_i32 s11, s11, s24
	s_mul_i32 s26, s3, s10
	s_mul_i32 s25, s10, s11
	s_mul_hi_u32 s27, s10, s26
	s_mul_hi_u32 s24, s10, s11
	s_add_u32 s25, s27, s25
	s_addc_u32 s24, 0, s24
	s_mul_hi_u32 s28, s23, s26
	s_mul_i32 s26, s23, s26
	s_add_u32 s25, s25, s26
	s_mul_hi_u32 s27, s23, s11
	s_addc_u32 s24, s24, s28
	s_addc_u32 s25, s27, 0
	s_mul_i32 s11, s23, s11
	s_add_u32 s11, s24, s11
	s_addc_u32 s24, 0, s25
	s_add_u32 s25, s10, s11
	s_cselect_b64 s[10:11], -1, 0
	s_cmp_lg_u64 s[10:11], 0
	s_addc_u32 s23, s23, s24
	s_mul_i32 s10, s3, s23
	s_mul_hi_u32 s11, s3, s25
	s_add_i32 s10, s11, s10
	s_mul_i32 s22, s22, s25
	s_add_i32 s10, s10, s22
	s_mul_i32 s3, s3, s25
	s_mul_hi_u32 s22, s23, s3
	s_mul_i32 s24, s23, s3
	s_mul_i32 s27, s25, s10
	s_mul_hi_u32 s3, s25, s3
	s_mul_hi_u32 s26, s25, s10
	s_add_u32 s3, s3, s27
	s_addc_u32 s26, 0, s26
	s_add_u32 s3, s3, s24
	s_mul_hi_u32 s11, s23, s10
	s_addc_u32 s3, s26, s22
	s_addc_u32 s11, s11, 0
	s_mul_i32 s10, s23, s10
	s_add_u32 s3, s3, s10
	s_addc_u32 s22, 0, s11
	s_add_u32 s3, s25, s3
	s_cselect_b64 s[10:11], -1, 0
	s_cmp_lg_u64 s[10:11], 0
	s_addc_u32 s24, s23, s22
	s_ashr_i32 s10, s19, 31
	s_add_u32 s22, s18, s10
	s_mov_b32 s11, s10
	s_addc_u32 s23, s19, s10
	s_xor_b64 s[22:23], s[22:23], s[10:11]
	s_mul_i32 s26, s22, s24
	s_mul_hi_u32 s27, s22, s3
	s_mul_hi_u32 s25, s22, s24
	s_add_u32 s26, s27, s26
	s_addc_u32 s25, 0, s25
	s_mul_hi_u32 s28, s23, s3
	s_mul_i32 s3, s23, s3
	s_add_u32 s3, s26, s3
	s_mul_hi_u32 s27, s23, s24
	s_addc_u32 s3, s25, s28
	s_addc_u32 s25, s27, 0
	s_mul_i32 s24, s23, s24
	s_add_u32 s3, s3, s24
	s_addc_u32 s28, 0, s25
	s_mul_i32 s24, s8, s28
	s_mul_hi_u32 s25, s8, s3
	s_add_i32 s24, s25, s24
	s_mul_i32 s25, s9, s3
	s_add_i32 s29, s24, s25
	s_sub_i32 s26, s23, s29
	s_mul_i32 s24, s8, s3
	s_sub_u32 s22, s22, s24
	s_cselect_b64 s[24:25], -1, 0
	s_cmp_lg_u64 s[24:25], 0
	s_subb_u32 s30, s26, s9
	s_sub_u32 s31, s22, s8
	s_cselect_b64 s[26:27], -1, 0
	s_cmp_lg_u64 s[26:27], 0
	s_subb_u32 s26, s30, 0
	s_cmp_ge_u32 s26, s9
	s_cselect_b32 s27, -1, 0
	s_cmp_ge_u32 s31, s8
	s_cselect_b32 s30, -1, 0
	s_cmp_eq_u32 s26, s9
	s_cselect_b32 s26, s30, s27
	s_add_u32 s27, s3, 1
	s_addc_u32 s30, s28, 0
	s_add_u32 s31, s3, 2
	s_addc_u32 s33, s28, 0
	s_cmp_lg_u32 s26, 0
	s_cselect_b32 s26, s31, s27
	s_cselect_b32 s27, s33, s30
	s_cmp_lg_u64 s[24:25], 0
	s_subb_u32 s23, s23, s29
	s_cmp_ge_u32 s23, s9
	s_cselect_b32 s24, -1, 0
	s_cmp_ge_u32 s22, s8
	s_cselect_b32 s8, -1, 0
	s_cmp_eq_u32 s23, s9
	s_cselect_b32 s8, s8, s24
	s_cmp_lg_u32 s8, 0
	s_cselect_b32 s9, s27, s28
	s_cselect_b32 s8, s26, s3
	s_xor_b64 s[4:5], s[10:11], s[4:5]
	s_xor_b64 s[8:9], s[8:9], s[4:5]
	s_sub_u32 s22, s8, s4
	s_subb_u32 s23, s9, s5
	s_cbranch_execnz .LBB8_4
.LBB8_3:
	v_cvt_f32_u32_e32 v1, s20
	s_sub_i32 s3, 0, s20
	s_mov_b32 s23, 0
	v_rcp_iflag_f32_e32 v1, v1
	s_nop 0
	v_mul_f32_e32 v1, 0x4f7ffffe, v1
	v_cvt_u32_f32_e32 v1, v1
	s_nop 0
	v_readfirstlane_b32 s4, v1
	s_mul_i32 s3, s3, s4
	s_mul_hi_u32 s3, s4, s3
	s_add_i32 s4, s4, s3
	s_mul_hi_u32 s3, s18, s4
	s_mul_i32 s5, s3, s20
	s_sub_i32 s5, s18, s5
	s_add_i32 s4, s3, 1
	s_sub_i32 s6, s5, s20
	s_cmp_ge_u32 s5, s20
	s_cselect_b32 s3, s4, s3
	s_cselect_b32 s5, s6, s5
	s_add_i32 s4, s3, 1
	s_cmp_ge_u32 s5, s20
	s_cselect_b32 s22, s4, s3
.LBB8_4:
	s_mul_i32 s24, s15, s14
	v_cmp_gt_i32_e32 vcc, s24, v0
	s_and_saveexec_b64 s[4:5], vcc
	s_cbranch_execz .LBB8_7
; %bb.5:
	s_mul_i32 s3, s22, s21
	s_mul_hi_u32 s21, s22, s20
	s_add_i32 s3, s21, s3
	s_mul_i32 s21, s23, s20
	s_add_i32 s3, s3, s21
	s_mul_i32 s23, s22, s20
	s_sub_u32 s18, s18, s23
	s_subb_u32 s19, s19, s3
	s_ashr_i32 s20, s12, 31
	s_mul_hi_u32 s21, s12, s2
	s_mul_i32 s26, s12, s2
	s_abs_i32 s12, s17
	v_cvt_f32_u32_e32 v1, s12
	s_mul_i32 s20, s20, s2
	s_sub_i32 s22, 0, s12
	s_add_i32 s27, s21, s20
	v_rcp_iflag_f32_e32 v1, v1
	s_ashr_i32 s20, s13, 31
	s_mul_hi_u32 s21, s13, s2
	s_mul_i32 s20, s20, s2
	v_mul_f32_e32 v1, 0x4f7ffffe, v1
	v_cvt_u32_f32_e32 v1, v1
	s_add_i32 s29, s21, s20
	s_abs_i32 s21, s15
	s_mul_i32 s28, s13, s2
	v_readfirstlane_b32 s30, v1
	s_mul_i32 s22, s22, s30
	s_mul_hi_u32 s22, s30, s22
	s_add_i32 s22, s30, s22
	s_mul_hi_u32 s30, s21, s22
	s_mul_i32 s31, s30, s12
	s_ashr_i32 s13, s15, 31
	s_ashr_i32 s20, s17, 31
	s_sub_i32 s31, s21, s31
	s_ashr_i32 s2, s14, 31
	s_xor_b32 s25, s13, s20
	s_add_i32 s33, s30, 1
	s_sub_i32 s34, s31, s12
	s_cmp_ge_u32 s31, s12
	s_cselect_b32 s30, s33, s30
	s_cselect_b32 s31, s34, s31
	s_add_i32 s33, s30, 1
	s_cmp_ge_u32 s31, s12
	s_mul_i32 s2, s23, s2
	s_mul_hi_u32 s31, s23, s14
	s_cselect_b32 s30, s33, s30
	s_mul_i32 s3, s3, s14
	s_add_i32 s2, s31, s2
	s_mul_i32 s34, s23, s14
	s_xor_b32 s30, s30, s25
	s_add_i32 s33, s2, s3
	s_mul_i32 s3, s34, s20
	s_mul_hi_u32 s14, s34, s17
	s_sub_i32 s25, s30, s25
	s_mul_i32 s2, s33, s17
	s_add_i32 s3, s14, s3
	s_ashr_i32 s30, s25, 31
	s_add_i32 s2, s3, s2
	s_mul_i32 s3, s34, s17
	s_mul_i32 s14, s3, s30
	s_mul_hi_u32 s23, s3, s25
	s_load_dwordx8 s[4:11], s[0:1], 0x0
	s_add_i32 s14, s23, s14
	s_mul_i32 s2, s2, s25
	v_cvt_f32_u32_e32 v1, s21
	s_add_i32 s31, s14, s2
	s_mul_i32 s14, s17, s16
	s_mul_i32 s30, s3, s25
	;; [unrolled: 1-line block ×4, first 2 shown]
	s_mul_hi_u32 s3, s18, s17
	s_mul_i32 s25, s34, s13
	s_mul_hi_u32 s35, s34, s15
	s_add_i32 s2, s3, s2
	s_mul_i32 s3, s19, s17
	s_mul_i32 s33, s33, s15
	s_add_i32 s25, s35, s25
	s_add_i32 s3, s2, s3
	;; [unrolled: 1-line block ×3, first 2 shown]
	s_lshl_b64 s[26:27], s[26:27], 2
	v_rcp_iflag_f32_e32 v1, v1
	s_waitcnt lgkmcnt(0)
	s_add_u32 s4, s4, s26
	s_addc_u32 s5, s5, s27
	s_lshl_b64 s[26:27], s[28:29], 2
	s_add_u32 s6, s6, s26
	s_addc_u32 s7, s7, s27
	s_lshl_b64 s[26:27], s[30:31], 2
	v_mul_f32_e32 v1, 0x4f7ffffe, v1
	s_mul_i32 s34, s34, s15
	s_add_u32 s8, s8, s26
	v_cvt_u32_f32_e32 v1, v1
	s_addc_u32 s9, s9, s27
	s_lshl_b64 s[26:27], s[34:35], 2
	s_load_dword s25, s[0:1], 0x5c
	s_add_u32 s0, s10, s26
	s_addc_u32 s1, s11, s27
	s_sub_i32 s10, 0, s21
	v_mul_lo_u32 v2, s10, v1
	v_mul_hi_u32 v2, v1, v2
	s_mul_i32 s2, s18, s17
	s_waitcnt lgkmcnt(0)
	s_and_b32 s25, s25, 0xffff
	v_add_u32_e32 v2, v1, v2
	s_sub_i32 s26, 0, s15
	s_sub_i32 s17, 0, s17
	s_mov_b64 s[10:11], 0
.LBB8_6:                                ; =>This Inner Loop Header: Depth=1
	v_ashrrev_i32_e32 v1, 31, v0
	v_lshlrev_b64 v[4:5], 2, v[0:1]
	v_lshl_add_u64 v[6:7], s[4:5], 0, v[4:5]
	global_load_dword v3, v[6:7], off
	v_lshl_add_u64 v[4:5], s[6:7], 0, v[4:5]
	global_load_dword v12, v[4:5], off
	v_sub_u32_e32 v4, 0, v0
	v_max_i32_e32 v4, v0, v4
	v_mul_hi_u32 v6, v4, v2
	v_mul_lo_u32 v7, v6, s21
	v_sub_u32_e32 v4, v4, v7
	v_add_u32_e32 v8, 1, v6
	v_cmp_le_u32_e32 vcc, s21, v4
	v_subrev_u32_e32 v7, s21, v4
	v_xor_b32_e32 v5, s13, v1
	v_cndmask_b32_e32 v6, v6, v8, vcc
	v_cndmask_b32_e32 v4, v4, v7, vcc
	v_add_u32_e32 v7, 1, v6
	v_cmp_le_u32_e32 vcc, s21, v4
	s_nop 1
	v_cndmask_b32_e32 v4, v6, v7, vcc
	v_xor_b32_e32 v4, v4, v5
	v_sub_u32_e32 v6, v4, v5
	v_mad_u64_u32 v[4:5], s[28:29], s26, v6, v[0:1]
	v_mul_lo_u32 v9, v6, s15
	v_ashrrev_i32_e32 v1, 31, v4
	v_mul_lo_u32 v8, v9, s16
	v_sub_u32_e32 v13, v1, v9
	v_mul_lo_u32 v10, v4, s16
	v_ashrrev_i32_e32 v9, 31, v8
	v_add_u32_e32 v13, v0, v13
	v_xor_b32_e32 v5, s20, v1
	v_ashrrev_i32_e32 v11, 31, v10
	v_lshl_add_u64 v[8:9], v[8:9], 2, s[0:1]
	v_xor_b32_e32 v1, v13, v1
	v_lshl_add_u64 v[8:9], v[10:11], 2, v[8:9]
	v_mul_hi_u32 v10, v1, s22
	v_add_u32_e32 v0, s25, v0
	v_mul_lo_u32 v11, v10, s12
	v_cmp_le_i32_e32 vcc, s24, v0
	v_sub_u32_e32 v1, v1, v11
	s_or_b64 s[10:11], vcc, s[10:11]
	v_add_u32_e32 v13, 1, v10
	v_cmp_le_u32_e32 vcc, s12, v1
	v_subrev_u32_e32 v11, s12, v1
	v_mul_lo_u32 v6, s23, v6
	v_cndmask_b32_e32 v10, v10, v13, vcc
	v_cndmask_b32_e32 v1, v1, v11, vcc
	v_add_u32_e32 v11, 1, v10
	v_cmp_le_u32_e32 vcc, s12, v1
	v_ashrrev_i32_e32 v7, 31, v6
	v_lshl_add_u64 v[6:7], v[6:7], 2, s[8:9]
	v_cndmask_b32_e32 v1, v10, v11, vcc
	v_xor_b32_e32 v1, v1, v5
	v_sub_u32_e32 v1, v1, v5
	v_mul_lo_u32 v10, s14, v1
	v_ashrrev_i32_e32 v11, 31, v10
	v_mad_u64_u32 v[4:5], s[28:29], s17, v1, v[4:5]
	v_lshl_add_u64 v[6:7], v[10:11], 2, v[6:7]
	v_ashrrev_i32_e32 v5, 31, v4
	v_lshl_add_u64 v[6:7], s[2:3], 2, v[6:7]
	v_lshl_add_u64 v[4:5], v[4:5], 2, v[6:7]
	;; [unrolled: 1-line block ×3, first 2 shown]
	s_waitcnt vmcnt(1)
	global_store_dword v[4:5], v3, off
	s_waitcnt vmcnt(1)
	global_store_dword v[8:9], v12, off
	s_andn2_b64 exec, exec, s[10:11]
	s_cbranch_execnz .LBB8_6
.LBB8_7:
	s_endpgm
.LBB8_8:
                                        ; implicit-def: $sgpr22_sgpr23
	s_branch .LBB8_3
	.section	.rodata,"a",@progbits
	.p2align	6, 0x0
	.amdhsa_kernel _ZN4vllm24reshape_and_cache_kernelIffLNS_18Fp8KVCacheDataTypeE0EEEvPKT_S4_PT0_S6_PKliiiiiiPKfSA_
		.amdhsa_group_segment_fixed_size 0
		.amdhsa_private_segment_fixed_size 0
		.amdhsa_kernarg_size 336
		.amdhsa_user_sgpr_count 2
		.amdhsa_user_sgpr_dispatch_ptr 0
		.amdhsa_user_sgpr_queue_ptr 0
		.amdhsa_user_sgpr_kernarg_segment_ptr 1
		.amdhsa_user_sgpr_dispatch_id 0
		.amdhsa_user_sgpr_kernarg_preload_length 0
		.amdhsa_user_sgpr_kernarg_preload_offset 0
		.amdhsa_user_sgpr_private_segment_size 0
		.amdhsa_uses_dynamic_stack 0
		.amdhsa_enable_private_segment 0
		.amdhsa_system_sgpr_workgroup_id_x 1
		.amdhsa_system_sgpr_workgroup_id_y 0
		.amdhsa_system_sgpr_workgroup_id_z 0
		.amdhsa_system_sgpr_workgroup_info 0
		.amdhsa_system_vgpr_workitem_id 0
		.amdhsa_next_free_vgpr 14
		.amdhsa_next_free_sgpr 36
		.amdhsa_accum_offset 16
		.amdhsa_reserve_vcc 1
		.amdhsa_float_round_mode_32 0
		.amdhsa_float_round_mode_16_64 0
		.amdhsa_float_denorm_mode_32 3
		.amdhsa_float_denorm_mode_16_64 3
		.amdhsa_dx10_clamp 1
		.amdhsa_ieee_mode 1
		.amdhsa_fp16_overflow 0
		.amdhsa_tg_split 0
		.amdhsa_exception_fp_ieee_invalid_op 0
		.amdhsa_exception_fp_denorm_src 0
		.amdhsa_exception_fp_ieee_div_zero 0
		.amdhsa_exception_fp_ieee_overflow 0
		.amdhsa_exception_fp_ieee_underflow 0
		.amdhsa_exception_fp_ieee_inexact 0
		.amdhsa_exception_int_div_zero 0
	.end_amdhsa_kernel
	.section	.text._ZN4vllm24reshape_and_cache_kernelIffLNS_18Fp8KVCacheDataTypeE0EEEvPKT_S4_PT0_S6_PKliiiiiiPKfSA_,"axG",@progbits,_ZN4vllm24reshape_and_cache_kernelIffLNS_18Fp8KVCacheDataTypeE0EEEvPKT_S4_PT0_S6_PKliiiiiiPKfSA_,comdat
.Lfunc_end8:
	.size	_ZN4vllm24reshape_and_cache_kernelIffLNS_18Fp8KVCacheDataTypeE0EEEvPKT_S4_PT0_S6_PKliiiiiiPKfSA_, .Lfunc_end8-_ZN4vllm24reshape_and_cache_kernelIffLNS_18Fp8KVCacheDataTypeE0EEEvPKT_S4_PT0_S6_PKliiiiiiPKfSA_
                                        ; -- End function
	.set _ZN4vllm24reshape_and_cache_kernelIffLNS_18Fp8KVCacheDataTypeE0EEEvPKT_S4_PT0_S6_PKliiiiiiPKfSA_.num_vgpr, 14
	.set _ZN4vllm24reshape_and_cache_kernelIffLNS_18Fp8KVCacheDataTypeE0EEEvPKT_S4_PT0_S6_PKliiiiiiPKfSA_.num_agpr, 0
	.set _ZN4vllm24reshape_and_cache_kernelIffLNS_18Fp8KVCacheDataTypeE0EEEvPKT_S4_PT0_S6_PKliiiiiiPKfSA_.numbered_sgpr, 36
	.set _ZN4vllm24reshape_and_cache_kernelIffLNS_18Fp8KVCacheDataTypeE0EEEvPKT_S4_PT0_S6_PKliiiiiiPKfSA_.num_named_barrier, 0
	.set _ZN4vllm24reshape_and_cache_kernelIffLNS_18Fp8KVCacheDataTypeE0EEEvPKT_S4_PT0_S6_PKliiiiiiPKfSA_.private_seg_size, 0
	.set _ZN4vllm24reshape_and_cache_kernelIffLNS_18Fp8KVCacheDataTypeE0EEEvPKT_S4_PT0_S6_PKliiiiiiPKfSA_.uses_vcc, 1
	.set _ZN4vllm24reshape_and_cache_kernelIffLNS_18Fp8KVCacheDataTypeE0EEEvPKT_S4_PT0_S6_PKliiiiiiPKfSA_.uses_flat_scratch, 0
	.set _ZN4vllm24reshape_and_cache_kernelIffLNS_18Fp8KVCacheDataTypeE0EEEvPKT_S4_PT0_S6_PKliiiiiiPKfSA_.has_dyn_sized_stack, 0
	.set _ZN4vllm24reshape_and_cache_kernelIffLNS_18Fp8KVCacheDataTypeE0EEEvPKT_S4_PT0_S6_PKliiiiiiPKfSA_.has_recursion, 0
	.set _ZN4vllm24reshape_and_cache_kernelIffLNS_18Fp8KVCacheDataTypeE0EEEvPKT_S4_PT0_S6_PKliiiiiiPKfSA_.has_indirect_call, 0
	.section	.AMDGPU.csdata,"",@progbits
; Kernel info:
; codeLenInByte = 1592
; TotalNumSgprs: 42
; NumVgprs: 14
; NumAgprs: 0
; TotalNumVgprs: 14
; ScratchSize: 0
; MemoryBound: 0
; FloatMode: 240
; IeeeMode: 1
; LDSByteSize: 0 bytes/workgroup (compile time only)
; SGPRBlocks: 5
; VGPRBlocks: 1
; NumSGPRsForWavesPerEU: 42
; NumVGPRsForWavesPerEU: 14
; AccumOffset: 16
; Occupancy: 8
; WaveLimiterHint : 1
; COMPUTE_PGM_RSRC2:SCRATCH_EN: 0
; COMPUTE_PGM_RSRC2:USER_SGPR: 2
; COMPUTE_PGM_RSRC2:TRAP_HANDLER: 0
; COMPUTE_PGM_RSRC2:TGID_X_EN: 1
; COMPUTE_PGM_RSRC2:TGID_Y_EN: 0
; COMPUTE_PGM_RSRC2:TGID_Z_EN: 0
; COMPUTE_PGM_RSRC2:TIDIG_COMP_CNT: 0
; COMPUTE_PGM_RSRC3_GFX90A:ACCUM_OFFSET: 3
; COMPUTE_PGM_RSRC3_GFX90A:TG_SPLIT: 0
	.section	.text._ZN4vllm24reshape_and_cache_kernelIttLNS_18Fp8KVCacheDataTypeE0EEEvPKT_S4_PT0_S6_PKliiiiiiPKfSA_,"axG",@progbits,_ZN4vllm24reshape_and_cache_kernelIttLNS_18Fp8KVCacheDataTypeE0EEEvPKT_S4_PT0_S6_PKliiiiiiPKfSA_,comdat
	.protected	_ZN4vllm24reshape_and_cache_kernelIttLNS_18Fp8KVCacheDataTypeE0EEEvPKT_S4_PT0_S6_PKliiiiiiPKfSA_ ; -- Begin function _ZN4vllm24reshape_and_cache_kernelIttLNS_18Fp8KVCacheDataTypeE0EEEvPKT_S4_PT0_S6_PKliiiiiiPKfSA_
	.globl	_ZN4vllm24reshape_and_cache_kernelIttLNS_18Fp8KVCacheDataTypeE0EEEvPKT_S4_PT0_S6_PKliiiiiiPKfSA_
	.p2align	8
	.type	_ZN4vllm24reshape_and_cache_kernelIttLNS_18Fp8KVCacheDataTypeE0EEEvPKT_S4_PT0_S6_PKliiiiiiPKfSA_,@function
_ZN4vllm24reshape_and_cache_kernelIttLNS_18Fp8KVCacheDataTypeE0EEEvPKT_S4_PT0_S6_PKliiiiiiPKfSA_: ; @_ZN4vllm24reshape_and_cache_kernelIttLNS_18Fp8KVCacheDataTypeE0EEEvPKT_S4_PT0_S6_PKliiiiiiPKfSA_
; %bb.0:
	s_load_dwordx2 s[4:5], s[0:1], 0x20
	s_mov_b32 s3, 0
	s_lshl_b64 s[6:7], s[2:3], 3
	s_waitcnt lgkmcnt(0)
	s_add_u32 s4, s4, s6
	s_addc_u32 s5, s5, s7
	s_load_dwordx2 s[18:19], s[4:5], 0x0
	s_waitcnt lgkmcnt(0)
	v_cmp_lt_i64_e64 s[4:5], s[18:19], 0
	s_and_b64 vcc, exec, s[4:5]
	s_cbranch_vccnz .LBB9_7
; %bb.1:
	s_load_dwordx2 s[16:17], s[0:1], 0x38
	s_load_dwordx4 s[12:15], s[0:1], 0x28
	s_waitcnt lgkmcnt(0)
	s_ashr_i32 s21, s16, 31
	s_mov_b32 s20, s16
	s_or_b64 s[4:5], s[18:19], s[20:21]
	s_mov_b32 s4, s3
	s_cmp_lg_u64 s[4:5], 0
	s_cbranch_scc0 .LBB9_8
; %bb.2:
	s_ashr_i32 s4, s21, 31
	s_add_u32 s6, s20, s4
	s_mov_b32 s5, s4
	s_addc_u32 s7, s21, s4
	s_xor_b64 s[8:9], s[6:7], s[4:5]
	v_cvt_f32_u32_e32 v1, s8
	v_cvt_f32_u32_e32 v2, s9
	s_sub_u32 s3, 0, s8
	s_subb_u32 s22, 0, s9
	v_fmamk_f32 v1, v2, 0x4f800000, v1
	v_rcp_f32_e32 v1, v1
	s_nop 0
	v_mul_f32_e32 v1, 0x5f7ffffc, v1
	v_mul_f32_e32 v2, 0x2f800000, v1
	v_trunc_f32_e32 v2, v2
	v_fmamk_f32 v1, v2, 0xcf800000, v1
	v_cvt_u32_f32_e32 v2, v2
	v_cvt_u32_f32_e32 v1, v1
	v_readfirstlane_b32 s23, v2
	v_readfirstlane_b32 s10, v1
	s_mul_i32 s11, s3, s23
	s_mul_hi_u32 s25, s3, s10
	s_mul_i32 s24, s22, s10
	s_add_i32 s11, s25, s11
	s_add_i32 s11, s11, s24
	s_mul_i32 s26, s3, s10
	s_mul_i32 s25, s10, s11
	s_mul_hi_u32 s27, s10, s26
	s_mul_hi_u32 s24, s10, s11
	s_add_u32 s25, s27, s25
	s_addc_u32 s24, 0, s24
	s_mul_hi_u32 s28, s23, s26
	s_mul_i32 s26, s23, s26
	s_add_u32 s25, s25, s26
	s_mul_hi_u32 s27, s23, s11
	s_addc_u32 s24, s24, s28
	s_addc_u32 s25, s27, 0
	s_mul_i32 s11, s23, s11
	s_add_u32 s11, s24, s11
	s_addc_u32 s24, 0, s25
	s_add_u32 s25, s10, s11
	s_cselect_b64 s[10:11], -1, 0
	s_cmp_lg_u64 s[10:11], 0
	s_addc_u32 s23, s23, s24
	s_mul_i32 s10, s3, s23
	s_mul_hi_u32 s11, s3, s25
	s_add_i32 s10, s11, s10
	s_mul_i32 s22, s22, s25
	s_add_i32 s10, s10, s22
	s_mul_i32 s3, s3, s25
	s_mul_hi_u32 s22, s23, s3
	s_mul_i32 s24, s23, s3
	s_mul_i32 s27, s25, s10
	s_mul_hi_u32 s3, s25, s3
	s_mul_hi_u32 s26, s25, s10
	s_add_u32 s3, s3, s27
	s_addc_u32 s26, 0, s26
	s_add_u32 s3, s3, s24
	s_mul_hi_u32 s11, s23, s10
	s_addc_u32 s3, s26, s22
	s_addc_u32 s11, s11, 0
	s_mul_i32 s10, s23, s10
	s_add_u32 s3, s3, s10
	s_addc_u32 s22, 0, s11
	s_add_u32 s3, s25, s3
	s_cselect_b64 s[10:11], -1, 0
	s_cmp_lg_u64 s[10:11], 0
	s_addc_u32 s24, s23, s22
	s_ashr_i32 s10, s19, 31
	s_add_u32 s22, s18, s10
	s_mov_b32 s11, s10
	s_addc_u32 s23, s19, s10
	s_xor_b64 s[22:23], s[22:23], s[10:11]
	s_mul_i32 s26, s22, s24
	s_mul_hi_u32 s27, s22, s3
	s_mul_hi_u32 s25, s22, s24
	s_add_u32 s26, s27, s26
	s_addc_u32 s25, 0, s25
	s_mul_hi_u32 s28, s23, s3
	s_mul_i32 s3, s23, s3
	s_add_u32 s3, s26, s3
	s_mul_hi_u32 s27, s23, s24
	s_addc_u32 s3, s25, s28
	s_addc_u32 s25, s27, 0
	s_mul_i32 s24, s23, s24
	s_add_u32 s3, s3, s24
	s_addc_u32 s28, 0, s25
	s_mul_i32 s24, s8, s28
	s_mul_hi_u32 s25, s8, s3
	s_add_i32 s24, s25, s24
	s_mul_i32 s25, s9, s3
	s_add_i32 s29, s24, s25
	s_sub_i32 s26, s23, s29
	s_mul_i32 s24, s8, s3
	s_sub_u32 s22, s22, s24
	s_cselect_b64 s[24:25], -1, 0
	s_cmp_lg_u64 s[24:25], 0
	s_subb_u32 s30, s26, s9
	s_sub_u32 s31, s22, s8
	s_cselect_b64 s[26:27], -1, 0
	s_cmp_lg_u64 s[26:27], 0
	s_subb_u32 s26, s30, 0
	s_cmp_ge_u32 s26, s9
	s_cselect_b32 s27, -1, 0
	s_cmp_ge_u32 s31, s8
	s_cselect_b32 s30, -1, 0
	s_cmp_eq_u32 s26, s9
	s_cselect_b32 s26, s30, s27
	s_add_u32 s27, s3, 1
	s_addc_u32 s30, s28, 0
	s_add_u32 s31, s3, 2
	s_addc_u32 s33, s28, 0
	s_cmp_lg_u32 s26, 0
	s_cselect_b32 s26, s31, s27
	s_cselect_b32 s27, s33, s30
	s_cmp_lg_u64 s[24:25], 0
	s_subb_u32 s23, s23, s29
	s_cmp_ge_u32 s23, s9
	s_cselect_b32 s24, -1, 0
	s_cmp_ge_u32 s22, s8
	s_cselect_b32 s8, -1, 0
	s_cmp_eq_u32 s23, s9
	s_cselect_b32 s8, s8, s24
	s_cmp_lg_u32 s8, 0
	s_cselect_b32 s9, s27, s28
	s_cselect_b32 s8, s26, s3
	s_xor_b64 s[4:5], s[10:11], s[4:5]
	s_xor_b64 s[8:9], s[8:9], s[4:5]
	s_sub_u32 s22, s8, s4
	s_subb_u32 s23, s9, s5
	s_cbranch_execnz .LBB9_4
.LBB9_3:
	v_cvt_f32_u32_e32 v1, s20
	s_sub_i32 s3, 0, s20
	s_mov_b32 s23, 0
	v_rcp_iflag_f32_e32 v1, v1
	s_nop 0
	v_mul_f32_e32 v1, 0x4f7ffffe, v1
	v_cvt_u32_f32_e32 v1, v1
	s_nop 0
	v_readfirstlane_b32 s4, v1
	s_mul_i32 s3, s3, s4
	s_mul_hi_u32 s3, s4, s3
	s_add_i32 s4, s4, s3
	s_mul_hi_u32 s3, s18, s4
	s_mul_i32 s5, s3, s20
	s_sub_i32 s5, s18, s5
	s_add_i32 s4, s3, 1
	s_sub_i32 s6, s5, s20
	s_cmp_ge_u32 s5, s20
	s_cselect_b32 s3, s4, s3
	s_cselect_b32 s5, s6, s5
	s_add_i32 s4, s3, 1
	s_cmp_ge_u32 s5, s20
	s_cselect_b32 s22, s4, s3
.LBB9_4:
	s_mul_i32 s24, s15, s14
	v_cmp_gt_i32_e32 vcc, s24, v0
	s_and_saveexec_b64 s[4:5], vcc
	s_cbranch_execz .LBB9_7
; %bb.5:
	s_mul_i32 s3, s22, s21
	s_mul_hi_u32 s21, s22, s20
	s_add_i32 s3, s21, s3
	s_mul_i32 s21, s23, s20
	s_add_i32 s3, s3, s21
	s_mul_i32 s23, s22, s20
	s_sub_u32 s18, s18, s23
	s_subb_u32 s19, s19, s3
	s_ashr_i32 s20, s12, 31
	s_mul_hi_u32 s21, s12, s2
	s_mul_i32 s26, s12, s2
	s_abs_i32 s12, s17
	v_cvt_f32_u32_e32 v1, s12
	s_mul_i32 s20, s20, s2
	s_sub_i32 s22, 0, s12
	s_add_i32 s27, s21, s20
	v_rcp_iflag_f32_e32 v1, v1
	s_ashr_i32 s20, s13, 31
	s_mul_hi_u32 s21, s13, s2
	s_mul_i32 s20, s20, s2
	v_mul_f32_e32 v1, 0x4f7ffffe, v1
	v_cvt_u32_f32_e32 v1, v1
	s_add_i32 s29, s21, s20
	s_abs_i32 s21, s15
	s_mul_i32 s28, s13, s2
	v_readfirstlane_b32 s30, v1
	s_mul_i32 s22, s22, s30
	s_mul_hi_u32 s22, s30, s22
	s_add_i32 s22, s30, s22
	s_mul_hi_u32 s30, s21, s22
	s_mul_i32 s31, s30, s12
	s_ashr_i32 s13, s15, 31
	s_ashr_i32 s20, s17, 31
	s_sub_i32 s31, s21, s31
	s_ashr_i32 s2, s14, 31
	s_xor_b32 s25, s13, s20
	s_add_i32 s33, s30, 1
	s_sub_i32 s34, s31, s12
	s_cmp_ge_u32 s31, s12
	s_cselect_b32 s30, s33, s30
	s_cselect_b32 s31, s34, s31
	s_add_i32 s33, s30, 1
	s_cmp_ge_u32 s31, s12
	s_mul_i32 s2, s23, s2
	s_mul_hi_u32 s31, s23, s14
	s_cselect_b32 s30, s33, s30
	s_mul_i32 s3, s3, s14
	s_add_i32 s2, s31, s2
	s_mul_i32 s34, s23, s14
	s_xor_b32 s30, s30, s25
	s_add_i32 s33, s2, s3
	s_mul_i32 s3, s34, s20
	s_mul_hi_u32 s14, s34, s17
	s_sub_i32 s25, s30, s25
	s_mul_i32 s2, s33, s17
	s_add_i32 s3, s14, s3
	s_ashr_i32 s30, s25, 31
	s_add_i32 s2, s3, s2
	s_mul_i32 s3, s34, s17
	s_mul_i32 s14, s3, s30
	s_mul_hi_u32 s23, s3, s25
	s_load_dwordx8 s[4:11], s[0:1], 0x0
	s_add_i32 s14, s23, s14
	s_mul_i32 s2, s2, s25
	v_cvt_f32_u32_e32 v1, s21
	s_add_i32 s31, s14, s2
	s_mul_i32 s14, s17, s16
	s_mul_i32 s30, s3, s25
	;; [unrolled: 1-line block ×4, first 2 shown]
	s_mul_hi_u32 s3, s18, s17
	s_mul_i32 s25, s34, s13
	s_mul_hi_u32 s35, s34, s15
	s_add_i32 s2, s3, s2
	s_mul_i32 s3, s19, s17
	s_mul_i32 s33, s33, s15
	s_add_i32 s25, s35, s25
	s_add_i32 s3, s2, s3
	;; [unrolled: 1-line block ×3, first 2 shown]
	s_lshl_b64 s[26:27], s[26:27], 1
	v_rcp_iflag_f32_e32 v1, v1
	s_waitcnt lgkmcnt(0)
	s_add_u32 s4, s4, s26
	s_addc_u32 s5, s5, s27
	s_lshl_b64 s[26:27], s[28:29], 1
	s_add_u32 s6, s6, s26
	s_addc_u32 s7, s7, s27
	s_lshl_b64 s[26:27], s[30:31], 1
	v_mul_f32_e32 v1, 0x4f7ffffe, v1
	s_mul_i32 s34, s34, s15
	s_add_u32 s8, s8, s26
	v_cvt_u32_f32_e32 v1, v1
	s_addc_u32 s9, s9, s27
	s_lshl_b64 s[26:27], s[34:35], 1
	s_load_dword s25, s[0:1], 0x5c
	s_add_u32 s0, s10, s26
	s_addc_u32 s1, s11, s27
	s_sub_i32 s10, 0, s21
	v_mul_lo_u32 v2, s10, v1
	v_mul_hi_u32 v2, v1, v2
	s_mul_i32 s2, s18, s17
	s_waitcnt lgkmcnt(0)
	s_and_b32 s25, s25, 0xffff
	v_add_u32_e32 v2, v1, v2
	s_sub_i32 s26, 0, s15
	s_sub_i32 s17, 0, s17
	s_mov_b64 s[10:11], 0
.LBB9_6:                                ; =>This Inner Loop Header: Depth=1
	v_ashrrev_i32_e32 v1, 31, v0
	v_lshlrev_b64 v[4:5], 1, v[0:1]
	v_lshl_add_u64 v[6:7], s[4:5], 0, v[4:5]
	global_load_ushort v3, v[6:7], off
	v_lshl_add_u64 v[4:5], s[6:7], 0, v[4:5]
	global_load_ushort v12, v[4:5], off
	v_sub_u32_e32 v4, 0, v0
	v_max_i32_e32 v4, v0, v4
	v_mul_hi_u32 v6, v4, v2
	v_mul_lo_u32 v7, v6, s21
	v_sub_u32_e32 v4, v4, v7
	v_add_u32_e32 v8, 1, v6
	v_cmp_le_u32_e32 vcc, s21, v4
	v_subrev_u32_e32 v7, s21, v4
	v_xor_b32_e32 v5, s13, v1
	v_cndmask_b32_e32 v6, v6, v8, vcc
	v_cndmask_b32_e32 v4, v4, v7, vcc
	v_add_u32_e32 v7, 1, v6
	v_cmp_le_u32_e32 vcc, s21, v4
	s_nop 1
	v_cndmask_b32_e32 v4, v6, v7, vcc
	v_xor_b32_e32 v4, v4, v5
	v_sub_u32_e32 v6, v4, v5
	v_mad_u64_u32 v[4:5], s[28:29], s26, v6, v[0:1]
	v_mul_lo_u32 v9, v6, s15
	v_ashrrev_i32_e32 v1, 31, v4
	v_mul_lo_u32 v8, v9, s16
	v_sub_u32_e32 v13, v1, v9
	v_mul_lo_u32 v10, v4, s16
	v_ashrrev_i32_e32 v9, 31, v8
	v_add_u32_e32 v13, v0, v13
	v_xor_b32_e32 v5, s20, v1
	v_ashrrev_i32_e32 v11, 31, v10
	v_lshl_add_u64 v[8:9], v[8:9], 1, s[0:1]
	v_xor_b32_e32 v1, v13, v1
	v_lshl_add_u64 v[8:9], v[10:11], 1, v[8:9]
	v_mul_hi_u32 v10, v1, s22
	v_add_u32_e32 v0, s25, v0
	v_mul_lo_u32 v11, v10, s12
	v_cmp_le_i32_e32 vcc, s24, v0
	v_sub_u32_e32 v1, v1, v11
	s_or_b64 s[10:11], vcc, s[10:11]
	v_add_u32_e32 v13, 1, v10
	v_cmp_le_u32_e32 vcc, s12, v1
	v_subrev_u32_e32 v11, s12, v1
	v_mul_lo_u32 v6, s23, v6
	v_cndmask_b32_e32 v10, v10, v13, vcc
	v_cndmask_b32_e32 v1, v1, v11, vcc
	v_add_u32_e32 v11, 1, v10
	v_cmp_le_u32_e32 vcc, s12, v1
	v_ashrrev_i32_e32 v7, 31, v6
	v_lshl_add_u64 v[6:7], v[6:7], 1, s[8:9]
	v_cndmask_b32_e32 v1, v10, v11, vcc
	v_xor_b32_e32 v1, v1, v5
	v_sub_u32_e32 v1, v1, v5
	v_mul_lo_u32 v10, s14, v1
	v_ashrrev_i32_e32 v11, 31, v10
	v_mad_u64_u32 v[4:5], s[28:29], s17, v1, v[4:5]
	v_lshl_add_u64 v[6:7], v[10:11], 1, v[6:7]
	v_ashrrev_i32_e32 v5, 31, v4
	v_lshl_add_u64 v[6:7], s[2:3], 1, v[6:7]
	v_lshl_add_u64 v[4:5], v[4:5], 1, v[6:7]
	;; [unrolled: 1-line block ×3, first 2 shown]
	s_waitcnt vmcnt(1)
	global_store_short v[4:5], v3, off
	s_waitcnt vmcnt(1)
	global_store_short v[8:9], v12, off
	s_andn2_b64 exec, exec, s[10:11]
	s_cbranch_execnz .LBB9_6
.LBB9_7:
	s_endpgm
.LBB9_8:
                                        ; implicit-def: $sgpr22_sgpr23
	s_branch .LBB9_3
	.section	.rodata,"a",@progbits
	.p2align	6, 0x0
	.amdhsa_kernel _ZN4vllm24reshape_and_cache_kernelIttLNS_18Fp8KVCacheDataTypeE0EEEvPKT_S4_PT0_S6_PKliiiiiiPKfSA_
		.amdhsa_group_segment_fixed_size 0
		.amdhsa_private_segment_fixed_size 0
		.amdhsa_kernarg_size 336
		.amdhsa_user_sgpr_count 2
		.amdhsa_user_sgpr_dispatch_ptr 0
		.amdhsa_user_sgpr_queue_ptr 0
		.amdhsa_user_sgpr_kernarg_segment_ptr 1
		.amdhsa_user_sgpr_dispatch_id 0
		.amdhsa_user_sgpr_kernarg_preload_length 0
		.amdhsa_user_sgpr_kernarg_preload_offset 0
		.amdhsa_user_sgpr_private_segment_size 0
		.amdhsa_uses_dynamic_stack 0
		.amdhsa_enable_private_segment 0
		.amdhsa_system_sgpr_workgroup_id_x 1
		.amdhsa_system_sgpr_workgroup_id_y 0
		.amdhsa_system_sgpr_workgroup_id_z 0
		.amdhsa_system_sgpr_workgroup_info 0
		.amdhsa_system_vgpr_workitem_id 0
		.amdhsa_next_free_vgpr 14
		.amdhsa_next_free_sgpr 36
		.amdhsa_accum_offset 16
		.amdhsa_reserve_vcc 1
		.amdhsa_float_round_mode_32 0
		.amdhsa_float_round_mode_16_64 0
		.amdhsa_float_denorm_mode_32 3
		.amdhsa_float_denorm_mode_16_64 3
		.amdhsa_dx10_clamp 1
		.amdhsa_ieee_mode 1
		.amdhsa_fp16_overflow 0
		.amdhsa_tg_split 0
		.amdhsa_exception_fp_ieee_invalid_op 0
		.amdhsa_exception_fp_denorm_src 0
		.amdhsa_exception_fp_ieee_div_zero 0
		.amdhsa_exception_fp_ieee_overflow 0
		.amdhsa_exception_fp_ieee_underflow 0
		.amdhsa_exception_fp_ieee_inexact 0
		.amdhsa_exception_int_div_zero 0
	.end_amdhsa_kernel
	.section	.text._ZN4vllm24reshape_and_cache_kernelIttLNS_18Fp8KVCacheDataTypeE0EEEvPKT_S4_PT0_S6_PKliiiiiiPKfSA_,"axG",@progbits,_ZN4vllm24reshape_and_cache_kernelIttLNS_18Fp8KVCacheDataTypeE0EEEvPKT_S4_PT0_S6_PKliiiiiiPKfSA_,comdat
.Lfunc_end9:
	.size	_ZN4vllm24reshape_and_cache_kernelIttLNS_18Fp8KVCacheDataTypeE0EEEvPKT_S4_PT0_S6_PKliiiiiiPKfSA_, .Lfunc_end9-_ZN4vllm24reshape_and_cache_kernelIttLNS_18Fp8KVCacheDataTypeE0EEEvPKT_S4_PT0_S6_PKliiiiiiPKfSA_
                                        ; -- End function
	.set _ZN4vllm24reshape_and_cache_kernelIttLNS_18Fp8KVCacheDataTypeE0EEEvPKT_S4_PT0_S6_PKliiiiiiPKfSA_.num_vgpr, 14
	.set _ZN4vllm24reshape_and_cache_kernelIttLNS_18Fp8KVCacheDataTypeE0EEEvPKT_S4_PT0_S6_PKliiiiiiPKfSA_.num_agpr, 0
	.set _ZN4vllm24reshape_and_cache_kernelIttLNS_18Fp8KVCacheDataTypeE0EEEvPKT_S4_PT0_S6_PKliiiiiiPKfSA_.numbered_sgpr, 36
	.set _ZN4vllm24reshape_and_cache_kernelIttLNS_18Fp8KVCacheDataTypeE0EEEvPKT_S4_PT0_S6_PKliiiiiiPKfSA_.num_named_barrier, 0
	.set _ZN4vllm24reshape_and_cache_kernelIttLNS_18Fp8KVCacheDataTypeE0EEEvPKT_S4_PT0_S6_PKliiiiiiPKfSA_.private_seg_size, 0
	.set _ZN4vllm24reshape_and_cache_kernelIttLNS_18Fp8KVCacheDataTypeE0EEEvPKT_S4_PT0_S6_PKliiiiiiPKfSA_.uses_vcc, 1
	.set _ZN4vllm24reshape_and_cache_kernelIttLNS_18Fp8KVCacheDataTypeE0EEEvPKT_S4_PT0_S6_PKliiiiiiPKfSA_.uses_flat_scratch, 0
	.set _ZN4vllm24reshape_and_cache_kernelIttLNS_18Fp8KVCacheDataTypeE0EEEvPKT_S4_PT0_S6_PKliiiiiiPKfSA_.has_dyn_sized_stack, 0
	.set _ZN4vllm24reshape_and_cache_kernelIttLNS_18Fp8KVCacheDataTypeE0EEEvPKT_S4_PT0_S6_PKliiiiiiPKfSA_.has_recursion, 0
	.set _ZN4vllm24reshape_and_cache_kernelIttLNS_18Fp8KVCacheDataTypeE0EEEvPKT_S4_PT0_S6_PKliiiiiiPKfSA_.has_indirect_call, 0
	.section	.AMDGPU.csdata,"",@progbits
; Kernel info:
; codeLenInByte = 1592
; TotalNumSgprs: 42
; NumVgprs: 14
; NumAgprs: 0
; TotalNumVgprs: 14
; ScratchSize: 0
; MemoryBound: 0
; FloatMode: 240
; IeeeMode: 1
; LDSByteSize: 0 bytes/workgroup (compile time only)
; SGPRBlocks: 5
; VGPRBlocks: 1
; NumSGPRsForWavesPerEU: 42
; NumVGPRsForWavesPerEU: 14
; AccumOffset: 16
; Occupancy: 8
; WaveLimiterHint : 1
; COMPUTE_PGM_RSRC2:SCRATCH_EN: 0
; COMPUTE_PGM_RSRC2:USER_SGPR: 2
; COMPUTE_PGM_RSRC2:TRAP_HANDLER: 0
; COMPUTE_PGM_RSRC2:TGID_X_EN: 1
; COMPUTE_PGM_RSRC2:TGID_Y_EN: 0
; COMPUTE_PGM_RSRC2:TGID_Z_EN: 0
; COMPUTE_PGM_RSRC2:TIDIG_COMP_CNT: 0
; COMPUTE_PGM_RSRC3_GFX90A:ACCUM_OFFSET: 3
; COMPUTE_PGM_RSRC3_GFX90A:TG_SPLIT: 0
	.section	.text._ZN4vllm24reshape_and_cache_kernelI14__hip_bfloat16S1_LNS_18Fp8KVCacheDataTypeE0EEEvPKT_S5_PT0_S7_PKliiiiiiPKfSB_,"axG",@progbits,_ZN4vllm24reshape_and_cache_kernelI14__hip_bfloat16S1_LNS_18Fp8KVCacheDataTypeE0EEEvPKT_S5_PT0_S7_PKliiiiiiPKfSB_,comdat
	.protected	_ZN4vllm24reshape_and_cache_kernelI14__hip_bfloat16S1_LNS_18Fp8KVCacheDataTypeE0EEEvPKT_S5_PT0_S7_PKliiiiiiPKfSB_ ; -- Begin function _ZN4vllm24reshape_and_cache_kernelI14__hip_bfloat16S1_LNS_18Fp8KVCacheDataTypeE0EEEvPKT_S5_PT0_S7_PKliiiiiiPKfSB_
	.globl	_ZN4vllm24reshape_and_cache_kernelI14__hip_bfloat16S1_LNS_18Fp8KVCacheDataTypeE0EEEvPKT_S5_PT0_S7_PKliiiiiiPKfSB_
	.p2align	8
	.type	_ZN4vllm24reshape_and_cache_kernelI14__hip_bfloat16S1_LNS_18Fp8KVCacheDataTypeE0EEEvPKT_S5_PT0_S7_PKliiiiiiPKfSB_,@function
_ZN4vllm24reshape_and_cache_kernelI14__hip_bfloat16S1_LNS_18Fp8KVCacheDataTypeE0EEEvPKT_S5_PT0_S7_PKliiiiiiPKfSB_: ; @_ZN4vllm24reshape_and_cache_kernelI14__hip_bfloat16S1_LNS_18Fp8KVCacheDataTypeE0EEEvPKT_S5_PT0_S7_PKliiiiiiPKfSB_
; %bb.0:
	s_load_dwordx2 s[4:5], s[0:1], 0x20
	s_mov_b32 s3, 0
	s_lshl_b64 s[6:7], s[2:3], 3
	s_waitcnt lgkmcnt(0)
	s_add_u32 s4, s4, s6
	s_addc_u32 s5, s5, s7
	s_load_dwordx2 s[18:19], s[4:5], 0x0
	s_waitcnt lgkmcnt(0)
	v_cmp_lt_i64_e64 s[4:5], s[18:19], 0
	s_and_b64 vcc, exec, s[4:5]
	s_cbranch_vccnz .LBB10_7
; %bb.1:
	s_load_dwordx2 s[16:17], s[0:1], 0x38
	s_load_dwordx4 s[12:15], s[0:1], 0x28
	s_waitcnt lgkmcnt(0)
	s_ashr_i32 s21, s16, 31
	s_mov_b32 s20, s16
	s_or_b64 s[4:5], s[18:19], s[20:21]
	s_mov_b32 s4, s3
	s_cmp_lg_u64 s[4:5], 0
	s_cbranch_scc0 .LBB10_8
; %bb.2:
	s_ashr_i32 s4, s21, 31
	s_add_u32 s6, s20, s4
	s_mov_b32 s5, s4
	s_addc_u32 s7, s21, s4
	s_xor_b64 s[8:9], s[6:7], s[4:5]
	v_cvt_f32_u32_e32 v1, s8
	v_cvt_f32_u32_e32 v2, s9
	s_sub_u32 s3, 0, s8
	s_subb_u32 s22, 0, s9
	v_fmamk_f32 v1, v2, 0x4f800000, v1
	v_rcp_f32_e32 v1, v1
	s_nop 0
	v_mul_f32_e32 v1, 0x5f7ffffc, v1
	v_mul_f32_e32 v2, 0x2f800000, v1
	v_trunc_f32_e32 v2, v2
	v_fmamk_f32 v1, v2, 0xcf800000, v1
	v_cvt_u32_f32_e32 v2, v2
	v_cvt_u32_f32_e32 v1, v1
	v_readfirstlane_b32 s23, v2
	v_readfirstlane_b32 s10, v1
	s_mul_i32 s11, s3, s23
	s_mul_hi_u32 s25, s3, s10
	s_mul_i32 s24, s22, s10
	s_add_i32 s11, s25, s11
	s_add_i32 s11, s11, s24
	s_mul_i32 s26, s3, s10
	s_mul_i32 s25, s10, s11
	s_mul_hi_u32 s27, s10, s26
	s_mul_hi_u32 s24, s10, s11
	s_add_u32 s25, s27, s25
	s_addc_u32 s24, 0, s24
	s_mul_hi_u32 s28, s23, s26
	s_mul_i32 s26, s23, s26
	s_add_u32 s25, s25, s26
	s_mul_hi_u32 s27, s23, s11
	s_addc_u32 s24, s24, s28
	s_addc_u32 s25, s27, 0
	s_mul_i32 s11, s23, s11
	s_add_u32 s11, s24, s11
	s_addc_u32 s24, 0, s25
	s_add_u32 s25, s10, s11
	s_cselect_b64 s[10:11], -1, 0
	s_cmp_lg_u64 s[10:11], 0
	s_addc_u32 s23, s23, s24
	s_mul_i32 s10, s3, s23
	s_mul_hi_u32 s11, s3, s25
	s_add_i32 s10, s11, s10
	s_mul_i32 s22, s22, s25
	s_add_i32 s10, s10, s22
	s_mul_i32 s3, s3, s25
	s_mul_hi_u32 s22, s23, s3
	s_mul_i32 s24, s23, s3
	s_mul_i32 s27, s25, s10
	s_mul_hi_u32 s3, s25, s3
	s_mul_hi_u32 s26, s25, s10
	s_add_u32 s3, s3, s27
	s_addc_u32 s26, 0, s26
	s_add_u32 s3, s3, s24
	s_mul_hi_u32 s11, s23, s10
	s_addc_u32 s3, s26, s22
	s_addc_u32 s11, s11, 0
	s_mul_i32 s10, s23, s10
	s_add_u32 s3, s3, s10
	s_addc_u32 s22, 0, s11
	s_add_u32 s3, s25, s3
	s_cselect_b64 s[10:11], -1, 0
	s_cmp_lg_u64 s[10:11], 0
	s_addc_u32 s24, s23, s22
	s_ashr_i32 s10, s19, 31
	s_add_u32 s22, s18, s10
	s_mov_b32 s11, s10
	s_addc_u32 s23, s19, s10
	s_xor_b64 s[22:23], s[22:23], s[10:11]
	s_mul_i32 s26, s22, s24
	s_mul_hi_u32 s27, s22, s3
	s_mul_hi_u32 s25, s22, s24
	s_add_u32 s26, s27, s26
	s_addc_u32 s25, 0, s25
	s_mul_hi_u32 s28, s23, s3
	s_mul_i32 s3, s23, s3
	s_add_u32 s3, s26, s3
	s_mul_hi_u32 s27, s23, s24
	s_addc_u32 s3, s25, s28
	s_addc_u32 s25, s27, 0
	s_mul_i32 s24, s23, s24
	s_add_u32 s3, s3, s24
	s_addc_u32 s28, 0, s25
	s_mul_i32 s24, s8, s28
	s_mul_hi_u32 s25, s8, s3
	s_add_i32 s24, s25, s24
	s_mul_i32 s25, s9, s3
	s_add_i32 s29, s24, s25
	s_sub_i32 s26, s23, s29
	s_mul_i32 s24, s8, s3
	s_sub_u32 s22, s22, s24
	s_cselect_b64 s[24:25], -1, 0
	s_cmp_lg_u64 s[24:25], 0
	s_subb_u32 s30, s26, s9
	s_sub_u32 s31, s22, s8
	s_cselect_b64 s[26:27], -1, 0
	s_cmp_lg_u64 s[26:27], 0
	s_subb_u32 s26, s30, 0
	s_cmp_ge_u32 s26, s9
	s_cselect_b32 s27, -1, 0
	s_cmp_ge_u32 s31, s8
	s_cselect_b32 s30, -1, 0
	s_cmp_eq_u32 s26, s9
	s_cselect_b32 s26, s30, s27
	s_add_u32 s27, s3, 1
	s_addc_u32 s30, s28, 0
	s_add_u32 s31, s3, 2
	s_addc_u32 s33, s28, 0
	s_cmp_lg_u32 s26, 0
	s_cselect_b32 s26, s31, s27
	s_cselect_b32 s27, s33, s30
	s_cmp_lg_u64 s[24:25], 0
	s_subb_u32 s23, s23, s29
	s_cmp_ge_u32 s23, s9
	s_cselect_b32 s24, -1, 0
	s_cmp_ge_u32 s22, s8
	s_cselect_b32 s8, -1, 0
	s_cmp_eq_u32 s23, s9
	s_cselect_b32 s8, s8, s24
	s_cmp_lg_u32 s8, 0
	s_cselect_b32 s9, s27, s28
	s_cselect_b32 s8, s26, s3
	s_xor_b64 s[4:5], s[10:11], s[4:5]
	s_xor_b64 s[8:9], s[8:9], s[4:5]
	s_sub_u32 s22, s8, s4
	s_subb_u32 s23, s9, s5
	s_cbranch_execnz .LBB10_4
.LBB10_3:
	v_cvt_f32_u32_e32 v1, s20
	s_sub_i32 s3, 0, s20
	s_mov_b32 s23, 0
	v_rcp_iflag_f32_e32 v1, v1
	s_nop 0
	v_mul_f32_e32 v1, 0x4f7ffffe, v1
	v_cvt_u32_f32_e32 v1, v1
	s_nop 0
	v_readfirstlane_b32 s4, v1
	s_mul_i32 s3, s3, s4
	s_mul_hi_u32 s3, s4, s3
	s_add_i32 s4, s4, s3
	s_mul_hi_u32 s3, s18, s4
	s_mul_i32 s5, s3, s20
	s_sub_i32 s5, s18, s5
	s_add_i32 s4, s3, 1
	s_sub_i32 s6, s5, s20
	s_cmp_ge_u32 s5, s20
	s_cselect_b32 s3, s4, s3
	s_cselect_b32 s5, s6, s5
	s_add_i32 s4, s3, 1
	s_cmp_ge_u32 s5, s20
	s_cselect_b32 s22, s4, s3
.LBB10_4:
	s_mul_i32 s24, s15, s14
	v_cmp_gt_i32_e32 vcc, s24, v0
	s_and_saveexec_b64 s[4:5], vcc
	s_cbranch_execz .LBB10_7
; %bb.5:
	s_mul_i32 s3, s22, s21
	s_mul_hi_u32 s21, s22, s20
	s_add_i32 s3, s21, s3
	s_mul_i32 s21, s23, s20
	s_add_i32 s3, s3, s21
	s_mul_i32 s23, s22, s20
	s_sub_u32 s18, s18, s23
	s_subb_u32 s19, s19, s3
	s_ashr_i32 s20, s12, 31
	s_mul_hi_u32 s21, s12, s2
	s_mul_i32 s26, s12, s2
	s_abs_i32 s12, s17
	v_cvt_f32_u32_e32 v1, s12
	s_mul_i32 s20, s20, s2
	s_sub_i32 s22, 0, s12
	s_add_i32 s27, s21, s20
	v_rcp_iflag_f32_e32 v1, v1
	s_ashr_i32 s20, s13, 31
	s_mul_hi_u32 s21, s13, s2
	s_mul_i32 s20, s20, s2
	v_mul_f32_e32 v1, 0x4f7ffffe, v1
	v_cvt_u32_f32_e32 v1, v1
	s_add_i32 s29, s21, s20
	s_abs_i32 s21, s15
	s_mul_i32 s28, s13, s2
	v_readfirstlane_b32 s30, v1
	s_mul_i32 s22, s22, s30
	s_mul_hi_u32 s22, s30, s22
	s_add_i32 s22, s30, s22
	s_mul_hi_u32 s30, s21, s22
	s_mul_i32 s31, s30, s12
	s_ashr_i32 s13, s15, 31
	s_ashr_i32 s20, s17, 31
	s_sub_i32 s31, s21, s31
	s_ashr_i32 s2, s14, 31
	s_xor_b32 s25, s13, s20
	s_add_i32 s33, s30, 1
	s_sub_i32 s34, s31, s12
	s_cmp_ge_u32 s31, s12
	s_cselect_b32 s30, s33, s30
	s_cselect_b32 s31, s34, s31
	s_add_i32 s33, s30, 1
	s_cmp_ge_u32 s31, s12
	s_mul_i32 s2, s23, s2
	s_mul_hi_u32 s31, s23, s14
	s_cselect_b32 s30, s33, s30
	s_mul_i32 s3, s3, s14
	s_add_i32 s2, s31, s2
	s_mul_i32 s34, s23, s14
	s_xor_b32 s30, s30, s25
	s_add_i32 s33, s2, s3
	s_mul_i32 s3, s34, s20
	s_mul_hi_u32 s14, s34, s17
	s_sub_i32 s25, s30, s25
	s_mul_i32 s2, s33, s17
	s_add_i32 s3, s14, s3
	s_ashr_i32 s30, s25, 31
	s_add_i32 s2, s3, s2
	s_mul_i32 s3, s34, s17
	s_mul_i32 s14, s3, s30
	s_mul_hi_u32 s23, s3, s25
	s_load_dwordx8 s[4:11], s[0:1], 0x0
	s_add_i32 s14, s23, s14
	s_mul_i32 s2, s2, s25
	v_cvt_f32_u32_e32 v1, s21
	s_add_i32 s31, s14, s2
	s_mul_i32 s14, s17, s16
	s_mul_i32 s30, s3, s25
	;; [unrolled: 1-line block ×4, first 2 shown]
	s_mul_hi_u32 s3, s18, s17
	s_mul_i32 s25, s34, s13
	s_mul_hi_u32 s35, s34, s15
	s_add_i32 s2, s3, s2
	s_mul_i32 s3, s19, s17
	s_mul_i32 s33, s33, s15
	s_add_i32 s25, s35, s25
	s_add_i32 s3, s2, s3
	;; [unrolled: 1-line block ×3, first 2 shown]
	s_lshl_b64 s[26:27], s[26:27], 1
	v_rcp_iflag_f32_e32 v1, v1
	s_waitcnt lgkmcnt(0)
	s_add_u32 s4, s4, s26
	s_addc_u32 s5, s5, s27
	s_lshl_b64 s[26:27], s[28:29], 1
	s_add_u32 s6, s6, s26
	s_addc_u32 s7, s7, s27
	s_lshl_b64 s[26:27], s[30:31], 1
	v_mul_f32_e32 v1, 0x4f7ffffe, v1
	s_mul_i32 s34, s34, s15
	s_add_u32 s8, s8, s26
	v_cvt_u32_f32_e32 v1, v1
	s_addc_u32 s9, s9, s27
	s_lshl_b64 s[26:27], s[34:35], 1
	s_load_dword s25, s[0:1], 0x5c
	s_add_u32 s0, s10, s26
	s_addc_u32 s1, s11, s27
	s_sub_i32 s10, 0, s21
	v_mul_lo_u32 v2, s10, v1
	v_mul_hi_u32 v2, v1, v2
	s_mul_i32 s2, s18, s17
	s_waitcnt lgkmcnt(0)
	s_and_b32 s25, s25, 0xffff
	v_add_u32_e32 v2, v1, v2
	s_sub_i32 s26, 0, s15
	s_sub_i32 s17, 0, s17
	s_mov_b64 s[10:11], 0
.LBB10_6:                               ; =>This Inner Loop Header: Depth=1
	v_ashrrev_i32_e32 v1, 31, v0
	v_lshlrev_b64 v[4:5], 1, v[0:1]
	v_lshl_add_u64 v[6:7], s[4:5], 0, v[4:5]
	global_load_ushort v3, v[6:7], off
	v_lshl_add_u64 v[4:5], s[6:7], 0, v[4:5]
	global_load_ushort v12, v[4:5], off
	v_sub_u32_e32 v4, 0, v0
	v_max_i32_e32 v4, v0, v4
	v_mul_hi_u32 v6, v4, v2
	v_mul_lo_u32 v7, v6, s21
	v_sub_u32_e32 v4, v4, v7
	v_add_u32_e32 v8, 1, v6
	v_cmp_le_u32_e32 vcc, s21, v4
	v_subrev_u32_e32 v7, s21, v4
	v_xor_b32_e32 v5, s13, v1
	v_cndmask_b32_e32 v6, v6, v8, vcc
	v_cndmask_b32_e32 v4, v4, v7, vcc
	v_add_u32_e32 v7, 1, v6
	v_cmp_le_u32_e32 vcc, s21, v4
	s_nop 1
	v_cndmask_b32_e32 v4, v6, v7, vcc
	v_xor_b32_e32 v4, v4, v5
	v_sub_u32_e32 v6, v4, v5
	v_mad_u64_u32 v[4:5], s[28:29], s26, v6, v[0:1]
	v_mul_lo_u32 v9, v6, s15
	v_ashrrev_i32_e32 v1, 31, v4
	v_mul_lo_u32 v8, v9, s16
	v_sub_u32_e32 v13, v1, v9
	v_mul_lo_u32 v10, v4, s16
	v_ashrrev_i32_e32 v9, 31, v8
	v_add_u32_e32 v13, v0, v13
	v_xor_b32_e32 v5, s20, v1
	v_ashrrev_i32_e32 v11, 31, v10
	v_lshl_add_u64 v[8:9], v[8:9], 1, s[0:1]
	v_xor_b32_e32 v1, v13, v1
	v_lshl_add_u64 v[8:9], v[10:11], 1, v[8:9]
	v_mul_hi_u32 v10, v1, s22
	v_add_u32_e32 v0, s25, v0
	v_mul_lo_u32 v11, v10, s12
	v_cmp_le_i32_e32 vcc, s24, v0
	v_sub_u32_e32 v1, v1, v11
	s_or_b64 s[10:11], vcc, s[10:11]
	v_add_u32_e32 v13, 1, v10
	v_cmp_le_u32_e32 vcc, s12, v1
	v_subrev_u32_e32 v11, s12, v1
	v_mul_lo_u32 v6, s23, v6
	v_cndmask_b32_e32 v10, v10, v13, vcc
	v_cndmask_b32_e32 v1, v1, v11, vcc
	v_add_u32_e32 v11, 1, v10
	v_cmp_le_u32_e32 vcc, s12, v1
	v_ashrrev_i32_e32 v7, 31, v6
	v_lshl_add_u64 v[6:7], v[6:7], 1, s[8:9]
	v_cndmask_b32_e32 v1, v10, v11, vcc
	v_xor_b32_e32 v1, v1, v5
	v_sub_u32_e32 v1, v1, v5
	v_mul_lo_u32 v10, s14, v1
	v_ashrrev_i32_e32 v11, 31, v10
	v_mad_u64_u32 v[4:5], s[28:29], s17, v1, v[4:5]
	v_lshl_add_u64 v[6:7], v[10:11], 1, v[6:7]
	v_ashrrev_i32_e32 v5, 31, v4
	v_lshl_add_u64 v[6:7], s[2:3], 1, v[6:7]
	v_lshl_add_u64 v[4:5], v[4:5], 1, v[6:7]
	v_lshl_add_u64 v[8:9], s[18:19], 1, v[8:9]
	s_waitcnt vmcnt(1)
	global_store_short v[4:5], v3, off
	s_waitcnt vmcnt(1)
	global_store_short v[8:9], v12, off
	s_andn2_b64 exec, exec, s[10:11]
	s_cbranch_execnz .LBB10_6
.LBB10_7:
	s_endpgm
.LBB10_8:
                                        ; implicit-def: $sgpr22_sgpr23
	s_branch .LBB10_3
	.section	.rodata,"a",@progbits
	.p2align	6, 0x0
	.amdhsa_kernel _ZN4vllm24reshape_and_cache_kernelI14__hip_bfloat16S1_LNS_18Fp8KVCacheDataTypeE0EEEvPKT_S5_PT0_S7_PKliiiiiiPKfSB_
		.amdhsa_group_segment_fixed_size 0
		.amdhsa_private_segment_fixed_size 0
		.amdhsa_kernarg_size 336
		.amdhsa_user_sgpr_count 2
		.amdhsa_user_sgpr_dispatch_ptr 0
		.amdhsa_user_sgpr_queue_ptr 0
		.amdhsa_user_sgpr_kernarg_segment_ptr 1
		.amdhsa_user_sgpr_dispatch_id 0
		.amdhsa_user_sgpr_kernarg_preload_length 0
		.amdhsa_user_sgpr_kernarg_preload_offset 0
		.amdhsa_user_sgpr_private_segment_size 0
		.amdhsa_uses_dynamic_stack 0
		.amdhsa_enable_private_segment 0
		.amdhsa_system_sgpr_workgroup_id_x 1
		.amdhsa_system_sgpr_workgroup_id_y 0
		.amdhsa_system_sgpr_workgroup_id_z 0
		.amdhsa_system_sgpr_workgroup_info 0
		.amdhsa_system_vgpr_workitem_id 0
		.amdhsa_next_free_vgpr 14
		.amdhsa_next_free_sgpr 36
		.amdhsa_accum_offset 16
		.amdhsa_reserve_vcc 1
		.amdhsa_float_round_mode_32 0
		.amdhsa_float_round_mode_16_64 0
		.amdhsa_float_denorm_mode_32 3
		.amdhsa_float_denorm_mode_16_64 3
		.amdhsa_dx10_clamp 1
		.amdhsa_ieee_mode 1
		.amdhsa_fp16_overflow 0
		.amdhsa_tg_split 0
		.amdhsa_exception_fp_ieee_invalid_op 0
		.amdhsa_exception_fp_denorm_src 0
		.amdhsa_exception_fp_ieee_div_zero 0
		.amdhsa_exception_fp_ieee_overflow 0
		.amdhsa_exception_fp_ieee_underflow 0
		.amdhsa_exception_fp_ieee_inexact 0
		.amdhsa_exception_int_div_zero 0
	.end_amdhsa_kernel
	.section	.text._ZN4vllm24reshape_and_cache_kernelI14__hip_bfloat16S1_LNS_18Fp8KVCacheDataTypeE0EEEvPKT_S5_PT0_S7_PKliiiiiiPKfSB_,"axG",@progbits,_ZN4vllm24reshape_and_cache_kernelI14__hip_bfloat16S1_LNS_18Fp8KVCacheDataTypeE0EEEvPKT_S5_PT0_S7_PKliiiiiiPKfSB_,comdat
.Lfunc_end10:
	.size	_ZN4vllm24reshape_and_cache_kernelI14__hip_bfloat16S1_LNS_18Fp8KVCacheDataTypeE0EEEvPKT_S5_PT0_S7_PKliiiiiiPKfSB_, .Lfunc_end10-_ZN4vllm24reshape_and_cache_kernelI14__hip_bfloat16S1_LNS_18Fp8KVCacheDataTypeE0EEEvPKT_S5_PT0_S7_PKliiiiiiPKfSB_
                                        ; -- End function
	.set _ZN4vllm24reshape_and_cache_kernelI14__hip_bfloat16S1_LNS_18Fp8KVCacheDataTypeE0EEEvPKT_S5_PT0_S7_PKliiiiiiPKfSB_.num_vgpr, 14
	.set _ZN4vllm24reshape_and_cache_kernelI14__hip_bfloat16S1_LNS_18Fp8KVCacheDataTypeE0EEEvPKT_S5_PT0_S7_PKliiiiiiPKfSB_.num_agpr, 0
	.set _ZN4vllm24reshape_and_cache_kernelI14__hip_bfloat16S1_LNS_18Fp8KVCacheDataTypeE0EEEvPKT_S5_PT0_S7_PKliiiiiiPKfSB_.numbered_sgpr, 36
	.set _ZN4vllm24reshape_and_cache_kernelI14__hip_bfloat16S1_LNS_18Fp8KVCacheDataTypeE0EEEvPKT_S5_PT0_S7_PKliiiiiiPKfSB_.num_named_barrier, 0
	.set _ZN4vllm24reshape_and_cache_kernelI14__hip_bfloat16S1_LNS_18Fp8KVCacheDataTypeE0EEEvPKT_S5_PT0_S7_PKliiiiiiPKfSB_.private_seg_size, 0
	.set _ZN4vllm24reshape_and_cache_kernelI14__hip_bfloat16S1_LNS_18Fp8KVCacheDataTypeE0EEEvPKT_S5_PT0_S7_PKliiiiiiPKfSB_.uses_vcc, 1
	.set _ZN4vllm24reshape_and_cache_kernelI14__hip_bfloat16S1_LNS_18Fp8KVCacheDataTypeE0EEEvPKT_S5_PT0_S7_PKliiiiiiPKfSB_.uses_flat_scratch, 0
	.set _ZN4vllm24reshape_and_cache_kernelI14__hip_bfloat16S1_LNS_18Fp8KVCacheDataTypeE0EEEvPKT_S5_PT0_S7_PKliiiiiiPKfSB_.has_dyn_sized_stack, 0
	.set _ZN4vllm24reshape_and_cache_kernelI14__hip_bfloat16S1_LNS_18Fp8KVCacheDataTypeE0EEEvPKT_S5_PT0_S7_PKliiiiiiPKfSB_.has_recursion, 0
	.set _ZN4vllm24reshape_and_cache_kernelI14__hip_bfloat16S1_LNS_18Fp8KVCacheDataTypeE0EEEvPKT_S5_PT0_S7_PKliiiiiiPKfSB_.has_indirect_call, 0
	.section	.AMDGPU.csdata,"",@progbits
; Kernel info:
; codeLenInByte = 1592
; TotalNumSgprs: 42
; NumVgprs: 14
; NumAgprs: 0
; TotalNumVgprs: 14
; ScratchSize: 0
; MemoryBound: 0
; FloatMode: 240
; IeeeMode: 1
; LDSByteSize: 0 bytes/workgroup (compile time only)
; SGPRBlocks: 5
; VGPRBlocks: 1
; NumSGPRsForWavesPerEU: 42
; NumVGPRsForWavesPerEU: 14
; AccumOffset: 16
; Occupancy: 8
; WaveLimiterHint : 1
; COMPUTE_PGM_RSRC2:SCRATCH_EN: 0
; COMPUTE_PGM_RSRC2:USER_SGPR: 2
; COMPUTE_PGM_RSRC2:TRAP_HANDLER: 0
; COMPUTE_PGM_RSRC2:TGID_X_EN: 1
; COMPUTE_PGM_RSRC2:TGID_Y_EN: 0
; COMPUTE_PGM_RSRC2:TGID_Z_EN: 0
; COMPUTE_PGM_RSRC2:TIDIG_COMP_CNT: 0
; COMPUTE_PGM_RSRC3_GFX90A:ACCUM_OFFSET: 3
; COMPUTE_PGM_RSRC3_GFX90A:TG_SPLIT: 0
	.section	.text._ZN4vllm24reshape_and_cache_kernelIfhLNS_18Fp8KVCacheDataTypeE1EEEvPKT_S4_PT0_S6_PKliiiiiiPKfSA_,"axG",@progbits,_ZN4vllm24reshape_and_cache_kernelIfhLNS_18Fp8KVCacheDataTypeE1EEEvPKT_S4_PT0_S6_PKliiiiiiPKfSA_,comdat
	.protected	_ZN4vllm24reshape_and_cache_kernelIfhLNS_18Fp8KVCacheDataTypeE1EEEvPKT_S4_PT0_S6_PKliiiiiiPKfSA_ ; -- Begin function _ZN4vllm24reshape_and_cache_kernelIfhLNS_18Fp8KVCacheDataTypeE1EEEvPKT_S4_PT0_S6_PKliiiiiiPKfSA_
	.globl	_ZN4vllm24reshape_and_cache_kernelIfhLNS_18Fp8KVCacheDataTypeE1EEEvPKT_S4_PT0_S6_PKliiiiiiPKfSA_
	.p2align	8
	.type	_ZN4vllm24reshape_and_cache_kernelIfhLNS_18Fp8KVCacheDataTypeE1EEEvPKT_S4_PT0_S6_PKliiiiiiPKfSA_,@function
_ZN4vllm24reshape_and_cache_kernelIfhLNS_18Fp8KVCacheDataTypeE1EEEvPKT_S4_PT0_S6_PKliiiiiiPKfSA_: ; @_ZN4vllm24reshape_and_cache_kernelIfhLNS_18Fp8KVCacheDataTypeE1EEEvPKT_S4_PT0_S6_PKliiiiiiPKfSA_
; %bb.0:
	s_load_dwordx2 s[4:5], s[0:1], 0x20
	s_mov_b32 s3, 0
	s_lshl_b64 s[6:7], s[2:3], 3
	s_waitcnt lgkmcnt(0)
	s_add_u32 s4, s4, s6
	s_addc_u32 s5, s5, s7
	s_load_dwordx2 s[16:17], s[4:5], 0x0
	s_waitcnt lgkmcnt(0)
	v_cmp_lt_i64_e64 s[4:5], s[16:17], 0
	s_and_b64 vcc, exec, s[4:5]
	s_cbranch_vccnz .LBB11_7
; %bb.1:
	s_load_dwordx2 s[20:21], s[0:1], 0x38
	s_load_dwordx4 s[12:15], s[0:1], 0x28
	s_waitcnt lgkmcnt(0)
	s_ashr_i32 s19, s20, 31
	s_mov_b32 s18, s20
	s_or_b64 s[4:5], s[16:17], s[18:19]
	s_mov_b32 s4, s3
	s_cmp_lg_u64 s[4:5], 0
	s_cbranch_scc0 .LBB11_8
; %bb.2:
	s_ashr_i32 s4, s19, 31
	s_add_u32 s6, s18, s4
	s_mov_b32 s5, s4
	s_addc_u32 s7, s19, s4
	s_xor_b64 s[8:9], s[6:7], s[4:5]
	v_cvt_f32_u32_e32 v1, s8
	v_cvt_f32_u32_e32 v2, s9
	s_sub_u32 s3, 0, s8
	s_subb_u32 s22, 0, s9
	v_fmamk_f32 v1, v2, 0x4f800000, v1
	v_rcp_f32_e32 v1, v1
	s_nop 0
	v_mul_f32_e32 v1, 0x5f7ffffc, v1
	v_mul_f32_e32 v2, 0x2f800000, v1
	v_trunc_f32_e32 v2, v2
	v_fmamk_f32 v1, v2, 0xcf800000, v1
	v_cvt_u32_f32_e32 v2, v2
	v_cvt_u32_f32_e32 v1, v1
	v_readfirstlane_b32 s23, v2
	v_readfirstlane_b32 s10, v1
	s_mul_i32 s11, s3, s23
	s_mul_hi_u32 s25, s3, s10
	s_mul_i32 s24, s22, s10
	s_add_i32 s11, s25, s11
	s_add_i32 s11, s11, s24
	s_mul_i32 s26, s3, s10
	s_mul_i32 s25, s10, s11
	s_mul_hi_u32 s27, s10, s26
	s_mul_hi_u32 s24, s10, s11
	s_add_u32 s25, s27, s25
	s_addc_u32 s24, 0, s24
	s_mul_hi_u32 s28, s23, s26
	s_mul_i32 s26, s23, s26
	s_add_u32 s25, s25, s26
	s_mul_hi_u32 s27, s23, s11
	s_addc_u32 s24, s24, s28
	s_addc_u32 s25, s27, 0
	s_mul_i32 s11, s23, s11
	s_add_u32 s11, s24, s11
	s_addc_u32 s24, 0, s25
	s_add_u32 s25, s10, s11
	s_cselect_b64 s[10:11], -1, 0
	s_cmp_lg_u64 s[10:11], 0
	s_addc_u32 s23, s23, s24
	s_mul_i32 s10, s3, s23
	s_mul_hi_u32 s11, s3, s25
	s_add_i32 s10, s11, s10
	s_mul_i32 s22, s22, s25
	s_add_i32 s10, s10, s22
	s_mul_i32 s3, s3, s25
	s_mul_hi_u32 s22, s23, s3
	s_mul_i32 s24, s23, s3
	s_mul_i32 s27, s25, s10
	s_mul_hi_u32 s3, s25, s3
	s_mul_hi_u32 s26, s25, s10
	s_add_u32 s3, s3, s27
	s_addc_u32 s26, 0, s26
	s_add_u32 s3, s3, s24
	s_mul_hi_u32 s11, s23, s10
	s_addc_u32 s3, s26, s22
	s_addc_u32 s11, s11, 0
	s_mul_i32 s10, s23, s10
	s_add_u32 s3, s3, s10
	s_addc_u32 s22, 0, s11
	s_add_u32 s3, s25, s3
	s_cselect_b64 s[10:11], -1, 0
	s_cmp_lg_u64 s[10:11], 0
	s_addc_u32 s24, s23, s22
	s_ashr_i32 s10, s17, 31
	s_add_u32 s22, s16, s10
	s_mov_b32 s11, s10
	s_addc_u32 s23, s17, s10
	s_xor_b64 s[22:23], s[22:23], s[10:11]
	s_mul_i32 s26, s22, s24
	s_mul_hi_u32 s27, s22, s3
	s_mul_hi_u32 s25, s22, s24
	s_add_u32 s26, s27, s26
	s_addc_u32 s25, 0, s25
	s_mul_hi_u32 s28, s23, s3
	s_mul_i32 s3, s23, s3
	s_add_u32 s3, s26, s3
	s_mul_hi_u32 s27, s23, s24
	s_addc_u32 s3, s25, s28
	s_addc_u32 s25, s27, 0
	s_mul_i32 s24, s23, s24
	s_add_u32 s3, s3, s24
	s_addc_u32 s28, 0, s25
	s_mul_i32 s24, s8, s28
	s_mul_hi_u32 s25, s8, s3
	s_add_i32 s24, s25, s24
	s_mul_i32 s25, s9, s3
	s_add_i32 s29, s24, s25
	s_sub_i32 s26, s23, s29
	s_mul_i32 s24, s8, s3
	s_sub_u32 s22, s22, s24
	s_cselect_b64 s[24:25], -1, 0
	s_cmp_lg_u64 s[24:25], 0
	s_subb_u32 s30, s26, s9
	s_sub_u32 s31, s22, s8
	s_cselect_b64 s[26:27], -1, 0
	s_cmp_lg_u64 s[26:27], 0
	s_subb_u32 s26, s30, 0
	s_cmp_ge_u32 s26, s9
	s_cselect_b32 s27, -1, 0
	s_cmp_ge_u32 s31, s8
	s_cselect_b32 s30, -1, 0
	s_cmp_eq_u32 s26, s9
	s_cselect_b32 s26, s30, s27
	s_add_u32 s27, s3, 1
	s_addc_u32 s30, s28, 0
	s_add_u32 s31, s3, 2
	s_addc_u32 s33, s28, 0
	s_cmp_lg_u32 s26, 0
	s_cselect_b32 s26, s31, s27
	s_cselect_b32 s27, s33, s30
	s_cmp_lg_u64 s[24:25], 0
	s_subb_u32 s23, s23, s29
	s_cmp_ge_u32 s23, s9
	s_cselect_b32 s24, -1, 0
	s_cmp_ge_u32 s22, s8
	s_cselect_b32 s8, -1, 0
	s_cmp_eq_u32 s23, s9
	s_cselect_b32 s8, s8, s24
	s_cmp_lg_u32 s8, 0
	s_cselect_b32 s9, s27, s28
	s_cselect_b32 s8, s26, s3
	s_xor_b64 s[4:5], s[10:11], s[4:5]
	s_xor_b64 s[8:9], s[8:9], s[4:5]
	s_sub_u32 s22, s8, s4
	s_subb_u32 s23, s9, s5
	s_cbranch_execnz .LBB11_4
.LBB11_3:
	v_cvt_f32_u32_e32 v1, s18
	s_sub_i32 s3, 0, s18
	s_mov_b32 s23, 0
	v_rcp_iflag_f32_e32 v1, v1
	s_nop 0
	v_mul_f32_e32 v1, 0x4f7ffffe, v1
	v_cvt_u32_f32_e32 v1, v1
	s_nop 0
	v_readfirstlane_b32 s4, v1
	s_mul_i32 s3, s3, s4
	s_mul_hi_u32 s3, s4, s3
	s_add_i32 s4, s4, s3
	s_mul_hi_u32 s3, s16, s4
	s_mul_i32 s5, s3, s18
	s_sub_i32 s5, s16, s5
	s_add_i32 s4, s3, 1
	s_sub_i32 s6, s5, s18
	s_cmp_ge_u32 s5, s18
	s_cselect_b32 s3, s4, s3
	s_cselect_b32 s5, s6, s5
	s_add_i32 s4, s3, 1
	s_cmp_ge_u32 s5, s18
	s_cselect_b32 s22, s4, s3
.LBB11_4:
	s_mul_i32 s24, s15, s14
	v_cmp_gt_i32_e32 vcc, s24, v0
	s_and_saveexec_b64 s[4:5], vcc
	s_cbranch_execz .LBB11_7
; %bb.5:
	s_mul_i32 s3, s22, s19
	s_mul_hi_u32 s19, s22, s18
	s_add_i32 s3, s19, s3
	s_mul_i32 s19, s23, s18
	s_add_i32 s30, s3, s19
	s_mul_i32 s31, s22, s18
	s_sub_u32 s22, s16, s31
	s_subb_u32 s23, s17, s30
	s_ashr_i32 s3, s12, 31
	s_mul_hi_u32 s25, s12, s2
	s_mul_i32 s3, s3, s2
	s_add_i32 s35, s25, s3
	s_abs_i32 s25, s21
	v_cvt_f32_u32_e32 v1, s25
	s_sub_i32 s29, 0, s25
	s_abs_i32 s28, s15
	s_ashr_i32 s3, s13, 31
	v_rcp_iflag_f32_e32 v1, v1
	s_mul_i32 s34, s12, s2
	s_mul_hi_u32 s12, s13, s2
	s_mul_i32 s3, s3, s2
	v_mul_f32_e32 v1, 0x4f7ffffe, v1
	v_cvt_u32_f32_e32 v1, v1
	s_ashr_i32 s26, s15, 31
	s_ashr_i32 s27, s21, 31
	s_add_i32 s3, s12, s3
	v_readfirstlane_b32 s33, v1
	s_mul_i32 s29, s29, s33
	s_mul_hi_u32 s29, s33, s29
	s_add_i32 s29, s33, s29
	s_mul_hi_u32 s33, s28, s29
	s_mul_i32 s36, s33, s25
	s_sub_i32 s36, s28, s36
	s_mul_i32 s2, s13, s2
	s_ashr_i32 s12, s14, 31
	s_xor_b32 s13, s26, s27
	s_add_i32 s37, s33, 1
	s_sub_i32 s38, s36, s25
	s_cmp_ge_u32 s36, s25
	s_cselect_b32 s33, s37, s33
	s_cselect_b32 s36, s38, s36
	s_add_i32 s37, s33, 1
	s_cmp_ge_u32 s36, s25
	s_mul_i32 s12, s31, s12
	s_mul_hi_u32 s36, s31, s14
	s_cselect_b32 s33, s37, s33
	s_mul_i32 s30, s30, s14
	s_add_i32 s12, s36, s12
	s_mul_i32 s31, s31, s14
	s_xor_b32 s33, s33, s13
	s_add_i32 s36, s12, s30
	s_mul_i32 s14, s31, s27
	s_mul_hi_u32 s30, s31, s21
	s_sub_i32 s13, s33, s13
	s_mul_i32 s12, s36, s21
	s_add_i32 s14, s30, s14
	s_ashr_i32 s33, s13, 31
	s_add_i32 s12, s14, s12
	s_mul_i32 s14, s31, s21
	s_load_dwordx8 s[4:11], s[0:1], 0x0
	s_mul_i32 s30, s14, s33
	s_mul_hi_u32 s33, s14, s13
	v_cvt_f32_u32_e32 v1, s28
	s_add_i32 s30, s33, s30
	s_mul_i32 s12, s12, s13
	s_mul_i32 s37, s14, s13
	;; [unrolled: 1-line block ×3, first 2 shown]
	s_add_i32 s33, s30, s12
	s_mul_i32 s30, s14, s13
	s_mul_i32 s12, s22, s27
	s_mul_hi_u32 s13, s22, s21
	s_mul_i32 s38, s31, s26
	s_mul_hi_u32 s39, s31, s15
	s_add_i32 s12, s13, s12
	s_mul_i32 s13, s23, s21
	s_mul_i32 s36, s36, s15
	s_add_i32 s38, s39, s38
	s_add_i32 s13, s12, s13
	;; [unrolled: 1-line block ×3, first 2 shown]
	s_lshl_b64 s[34:35], s[34:35], 2
	v_rcp_iflag_f32_e32 v1, v1
	s_waitcnt lgkmcnt(0)
	s_add_u32 s4, s4, s34
	s_load_dwordx4 s[16:19], s[0:1], 0x40
	s_addc_u32 s5, s5, s35
	s_lshl_b64 s[2:3], s[2:3], 2
	s_add_u32 s6, s6, s2
	s_addc_u32 s7, s7, s3
	v_mul_f32_e32 v1, 0x4f7ffffe, v1
	s_add_u32 s8, s8, s37
	v_cvt_u32_f32_e32 v1, v1
	s_mul_i32 s36, s31, s15
	s_addc_u32 s9, s9, s33
	s_load_dword s2, s[0:1], 0x5c
	s_waitcnt lgkmcnt(0)
	s_load_dword s31, s[16:17], 0x0
	s_add_u32 s10, s10, s36
	s_load_dword s18, s[18:19], 0x0
	s_addc_u32 s11, s11, s38
	s_sub_i32 s0, 0, s28
	v_mul_lo_u32 v2, s0, v1
	v_mul_hi_u32 v2, v1, v2
	s_mul_i32 s12, s22, s21
	s_and_b32 s19, s2, 0xffff
	v_add_u32_e32 v2, v1, v2
	s_sub_i32 s33, 0, s15
	s_sub_i32 s21, 0, s21
	s_mov_b64 s[16:17], 0
	s_mov_b32 s34, 0x7f800000
	s_mov_b32 s35, 0x43e00000
	v_mov_b32_e32 v3, 0xc3e00000
.LBB11_6:                               ; =>This Inner Loop Header: Depth=1
	v_ashrrev_i32_e32 v1, 31, v0
	v_lshlrev_b64 v[4:5], 2, v[0:1]
	v_lshl_add_u64 v[6:7], s[4:5], 0, v[4:5]
	global_load_dword v12, v[6:7], off
	v_lshl_add_u64 v[4:5], s[6:7], 0, v[4:5]
	global_load_dword v13, v[4:5], off
	v_sub_u32_e32 v4, 0, v0
	v_max_i32_e32 v4, v0, v4
	v_mul_hi_u32 v6, v4, v2
	v_mul_lo_u32 v7, v6, s28
	v_sub_u32_e32 v4, v4, v7
	v_add_u32_e32 v8, 1, v6
	v_cmp_le_u32_e32 vcc, s28, v4
	v_subrev_u32_e32 v7, s28, v4
	v_xor_b32_e32 v5, s26, v1
	v_cndmask_b32_e32 v6, v6, v8, vcc
	v_cndmask_b32_e32 v4, v4, v7, vcc
	v_add_u32_e32 v7, 1, v6
	v_cmp_le_u32_e32 vcc, s28, v4
	v_mov_b32_e32 v14, 0
	v_mov_b32_e32 v15, 0
	v_cndmask_b32_e32 v4, v6, v7, vcc
	v_xor_b32_e32 v4, v4, v5
	v_sub_u32_e32 v6, v4, v5
	v_mad_u64_u32 v[4:5], s[0:1], s33, v6, v[0:1]
	v_mul_lo_u32 v9, v6, s15
	v_ashrrev_i32_e32 v1, 31, v4
	v_mul_lo_u32 v8, v9, s20
	v_sub_u32_e32 v16, v1, v9
	v_mul_lo_u32 v10, v4, s20
	v_ashrrev_i32_e32 v9, 31, v8
	v_add_u32_e32 v16, v0, v16
	v_xor_b32_e32 v5, s27, v1
	v_ashrrev_i32_e32 v11, 31, v10
	v_lshl_add_u64 v[8:9], s[10:11], 0, v[8:9]
	v_xor_b32_e32 v1, v16, v1
	v_lshl_add_u64 v[8:9], v[8:9], 0, v[10:11]
	v_mul_hi_u32 v10, v1, s29
	v_mul_lo_u32 v11, v10, s25
	v_sub_u32_e32 v1, v1, v11
	v_add_u32_e32 v16, 1, v10
	v_cmp_le_u32_e32 vcc, s25, v1
	v_subrev_u32_e32 v11, s25, v1
	v_mul_lo_u32 v6, s30, v6
	v_cndmask_b32_e32 v10, v10, v16, vcc
	v_cndmask_b32_e32 v1, v1, v11, vcc
	v_add_u32_e32 v11, 1, v10
	v_cmp_le_u32_e32 vcc, s25, v1
	v_ashrrev_i32_e32 v7, 31, v6
	v_lshl_add_u64 v[6:7], s[8:9], 0, v[6:7]
	v_cndmask_b32_e32 v1, v10, v11, vcc
	v_xor_b32_e32 v1, v1, v5
	v_sub_u32_e32 v1, v1, v5
	v_mul_lo_u32 v10, s14, v1
	v_mad_u64_u32 v[4:5], s[2:3], s21, v1, v[4:5]
	v_ashrrev_i32_e32 v11, 31, v10
	v_lshl_add_u64 v[6:7], v[6:7], 0, v[10:11]
	v_add_u32_e32 v0, s19, v0
	v_cmp_le_i32_e64 s[0:1], s24, v0
	v_ashrrev_i32_e32 v5, 31, v4
	v_lshl_add_u64 v[6:7], v[6:7], 0, s[12:13]
	v_lshl_add_u64 v[8:9], v[8:9], 0, s[22:23]
	;; [unrolled: 1-line block ×3, first 2 shown]
	s_or_b64 s[16:17], s[0:1], s[16:17]
	s_waitcnt vmcnt(1) lgkmcnt(0)
	v_div_scale_f32 v1, s[2:3], s31, s31, v12
	s_waitcnt vmcnt(0)
	v_div_scale_f32 v11, s[2:3], s18, s18, v13
	v_rcp_f32_e32 v16, v1
	v_rcp_f32_e32 v17, v11
	v_div_scale_f32 v10, vcc, v12, s31, v12
	v_fma_f32 v19, -v1, v16, 1.0
	v_fma_f32 v20, -v11, v17, 1.0
	v_fmac_f32_e32 v16, v19, v16
	v_div_scale_f32 v18, s[2:3], v13, s18, v13
	v_fmac_f32_e32 v17, v20, v17
	v_mul_f32_e32 v19, v10, v16
	v_mul_f32_e32 v20, v18, v17
	v_fma_f32 v21, -v1, v19, v10
	v_fma_f32 v22, -v11, v20, v18
	v_fmac_f32_e32 v19, v21, v16
	v_fmac_f32_e32 v20, v22, v17
	v_fma_f32 v1, -v1, v19, v10
	v_fma_f32 v10, -v11, v20, v18
	v_div_fmas_f32 v1, v1, v16, v19
	s_mov_b64 vcc, s[2:3]
	v_div_fixup_f32 v1, v1, s31, v12
	v_div_fmas_f32 v10, v10, v17, v20
	v_med3_f32 v11, v1, s35, v3
	v_div_fixup_f32 v10, v10, s18, v13
	v_cmp_nlg_f32_e64 vcc, |v1|, s34
	s_nop 1
	v_cndmask_b32_e32 v1, v11, v1, vcc
	v_med3_f32 v11, v10, s35, v3
	v_cmp_nlg_f32_e64 vcc, |v10|, s34
	v_cvt_pk_fp8_f32 v14, v1, v1
	global_store_byte v[4:5], v14, off
	v_cndmask_b32_e32 v1, v11, v10, vcc
	v_cvt_pk_fp8_f32 v15, v1, v1
	global_store_byte v[8:9], v15, off
	s_andn2_b64 exec, exec, s[16:17]
	s_cbranch_execnz .LBB11_6
.LBB11_7:
	s_endpgm
.LBB11_8:
                                        ; implicit-def: $sgpr22_sgpr23
	s_branch .LBB11_3
	.section	.rodata,"a",@progbits
	.p2align	6, 0x0
	.amdhsa_kernel _ZN4vllm24reshape_and_cache_kernelIfhLNS_18Fp8KVCacheDataTypeE1EEEvPKT_S4_PT0_S6_PKliiiiiiPKfSA_
		.amdhsa_group_segment_fixed_size 0
		.amdhsa_private_segment_fixed_size 0
		.amdhsa_kernarg_size 336
		.amdhsa_user_sgpr_count 2
		.amdhsa_user_sgpr_dispatch_ptr 0
		.amdhsa_user_sgpr_queue_ptr 0
		.amdhsa_user_sgpr_kernarg_segment_ptr 1
		.amdhsa_user_sgpr_dispatch_id 0
		.amdhsa_user_sgpr_kernarg_preload_length 0
		.amdhsa_user_sgpr_kernarg_preload_offset 0
		.amdhsa_user_sgpr_private_segment_size 0
		.amdhsa_uses_dynamic_stack 0
		.amdhsa_enable_private_segment 0
		.amdhsa_system_sgpr_workgroup_id_x 1
		.amdhsa_system_sgpr_workgroup_id_y 0
		.amdhsa_system_sgpr_workgroup_id_z 0
		.amdhsa_system_sgpr_workgroup_info 0
		.amdhsa_system_vgpr_workitem_id 0
		.amdhsa_next_free_vgpr 23
		.amdhsa_next_free_sgpr 40
		.amdhsa_accum_offset 24
		.amdhsa_reserve_vcc 1
		.amdhsa_float_round_mode_32 0
		.amdhsa_float_round_mode_16_64 0
		.amdhsa_float_denorm_mode_32 3
		.amdhsa_float_denorm_mode_16_64 3
		.amdhsa_dx10_clamp 1
		.amdhsa_ieee_mode 1
		.amdhsa_fp16_overflow 0
		.amdhsa_tg_split 0
		.amdhsa_exception_fp_ieee_invalid_op 0
		.amdhsa_exception_fp_denorm_src 0
		.amdhsa_exception_fp_ieee_div_zero 0
		.amdhsa_exception_fp_ieee_overflow 0
		.amdhsa_exception_fp_ieee_underflow 0
		.amdhsa_exception_fp_ieee_inexact 0
		.amdhsa_exception_int_div_zero 0
	.end_amdhsa_kernel
	.section	.text._ZN4vllm24reshape_and_cache_kernelIfhLNS_18Fp8KVCacheDataTypeE1EEEvPKT_S4_PT0_S6_PKliiiiiiPKfSA_,"axG",@progbits,_ZN4vllm24reshape_and_cache_kernelIfhLNS_18Fp8KVCacheDataTypeE1EEEvPKT_S4_PT0_S6_PKliiiiiiPKfSA_,comdat
.Lfunc_end11:
	.size	_ZN4vllm24reshape_and_cache_kernelIfhLNS_18Fp8KVCacheDataTypeE1EEEvPKT_S4_PT0_S6_PKliiiiiiPKfSA_, .Lfunc_end11-_ZN4vllm24reshape_and_cache_kernelIfhLNS_18Fp8KVCacheDataTypeE1EEEvPKT_S4_PT0_S6_PKliiiiiiPKfSA_
                                        ; -- End function
	.set _ZN4vllm24reshape_and_cache_kernelIfhLNS_18Fp8KVCacheDataTypeE1EEEvPKT_S4_PT0_S6_PKliiiiiiPKfSA_.num_vgpr, 23
	.set _ZN4vllm24reshape_and_cache_kernelIfhLNS_18Fp8KVCacheDataTypeE1EEEvPKT_S4_PT0_S6_PKliiiiiiPKfSA_.num_agpr, 0
	.set _ZN4vllm24reshape_and_cache_kernelIfhLNS_18Fp8KVCacheDataTypeE1EEEvPKT_S4_PT0_S6_PKliiiiiiPKfSA_.numbered_sgpr, 40
	.set _ZN4vllm24reshape_and_cache_kernelIfhLNS_18Fp8KVCacheDataTypeE1EEEvPKT_S4_PT0_S6_PKliiiiiiPKfSA_.num_named_barrier, 0
	.set _ZN4vllm24reshape_and_cache_kernelIfhLNS_18Fp8KVCacheDataTypeE1EEEvPKT_S4_PT0_S6_PKliiiiiiPKfSA_.private_seg_size, 0
	.set _ZN4vllm24reshape_and_cache_kernelIfhLNS_18Fp8KVCacheDataTypeE1EEEvPKT_S4_PT0_S6_PKliiiiiiPKfSA_.uses_vcc, 1
	.set _ZN4vllm24reshape_and_cache_kernelIfhLNS_18Fp8KVCacheDataTypeE1EEEvPKT_S4_PT0_S6_PKliiiiiiPKfSA_.uses_flat_scratch, 0
	.set _ZN4vllm24reshape_and_cache_kernelIfhLNS_18Fp8KVCacheDataTypeE1EEEvPKT_S4_PT0_S6_PKliiiiiiPKfSA_.has_dyn_sized_stack, 0
	.set _ZN4vllm24reshape_and_cache_kernelIfhLNS_18Fp8KVCacheDataTypeE1EEEvPKT_S4_PT0_S6_PKliiiiiiPKfSA_.has_recursion, 0
	.set _ZN4vllm24reshape_and_cache_kernelIfhLNS_18Fp8KVCacheDataTypeE1EEEvPKT_S4_PT0_S6_PKliiiiiiPKfSA_.has_indirect_call, 0
	.section	.AMDGPU.csdata,"",@progbits
; Kernel info:
; codeLenInByte = 1848
; TotalNumSgprs: 46
; NumVgprs: 23
; NumAgprs: 0
; TotalNumVgprs: 23
; ScratchSize: 0
; MemoryBound: 0
; FloatMode: 240
; IeeeMode: 1
; LDSByteSize: 0 bytes/workgroup (compile time only)
; SGPRBlocks: 5
; VGPRBlocks: 2
; NumSGPRsForWavesPerEU: 46
; NumVGPRsForWavesPerEU: 23
; AccumOffset: 24
; Occupancy: 8
; WaveLimiterHint : 1
; COMPUTE_PGM_RSRC2:SCRATCH_EN: 0
; COMPUTE_PGM_RSRC2:USER_SGPR: 2
; COMPUTE_PGM_RSRC2:TRAP_HANDLER: 0
; COMPUTE_PGM_RSRC2:TGID_X_EN: 1
; COMPUTE_PGM_RSRC2:TGID_Y_EN: 0
; COMPUTE_PGM_RSRC2:TGID_Z_EN: 0
; COMPUTE_PGM_RSRC2:TIDIG_COMP_CNT: 0
; COMPUTE_PGM_RSRC3_GFX90A:ACCUM_OFFSET: 5
; COMPUTE_PGM_RSRC3_GFX90A:TG_SPLIT: 0
	.section	.text._ZN4vllm24reshape_and_cache_kernelIthLNS_18Fp8KVCacheDataTypeE1EEEvPKT_S4_PT0_S6_PKliiiiiiPKfSA_,"axG",@progbits,_ZN4vllm24reshape_and_cache_kernelIthLNS_18Fp8KVCacheDataTypeE1EEEvPKT_S4_PT0_S6_PKliiiiiiPKfSA_,comdat
	.protected	_ZN4vllm24reshape_and_cache_kernelIthLNS_18Fp8KVCacheDataTypeE1EEEvPKT_S4_PT0_S6_PKliiiiiiPKfSA_ ; -- Begin function _ZN4vllm24reshape_and_cache_kernelIthLNS_18Fp8KVCacheDataTypeE1EEEvPKT_S4_PT0_S6_PKliiiiiiPKfSA_
	.globl	_ZN4vllm24reshape_and_cache_kernelIthLNS_18Fp8KVCacheDataTypeE1EEEvPKT_S4_PT0_S6_PKliiiiiiPKfSA_
	.p2align	8
	.type	_ZN4vllm24reshape_and_cache_kernelIthLNS_18Fp8KVCacheDataTypeE1EEEvPKT_S4_PT0_S6_PKliiiiiiPKfSA_,@function
_ZN4vllm24reshape_and_cache_kernelIthLNS_18Fp8KVCacheDataTypeE1EEEvPKT_S4_PT0_S6_PKliiiiiiPKfSA_: ; @_ZN4vllm24reshape_and_cache_kernelIthLNS_18Fp8KVCacheDataTypeE1EEEvPKT_S4_PT0_S6_PKliiiiiiPKfSA_
; %bb.0:
	s_load_dwordx2 s[4:5], s[0:1], 0x20
	s_mov_b32 s3, 0
	s_lshl_b64 s[6:7], s[2:3], 3
	s_waitcnt lgkmcnt(0)
	s_add_u32 s4, s4, s6
	s_addc_u32 s5, s5, s7
	s_load_dwordx2 s[16:17], s[4:5], 0x0
	s_waitcnt lgkmcnt(0)
	v_cmp_lt_i64_e64 s[4:5], s[16:17], 0
	s_and_b64 vcc, exec, s[4:5]
	s_cbranch_vccnz .LBB12_7
; %bb.1:
	s_load_dwordx2 s[20:21], s[0:1], 0x38
	s_load_dwordx4 s[12:15], s[0:1], 0x28
	s_waitcnt lgkmcnt(0)
	s_ashr_i32 s19, s20, 31
	s_mov_b32 s18, s20
	s_or_b64 s[4:5], s[16:17], s[18:19]
	s_mov_b32 s4, s3
	s_cmp_lg_u64 s[4:5], 0
	s_cbranch_scc0 .LBB12_8
; %bb.2:
	s_ashr_i32 s4, s19, 31
	s_add_u32 s6, s18, s4
	s_mov_b32 s5, s4
	s_addc_u32 s7, s19, s4
	s_xor_b64 s[8:9], s[6:7], s[4:5]
	v_cvt_f32_u32_e32 v1, s8
	v_cvt_f32_u32_e32 v2, s9
	s_sub_u32 s3, 0, s8
	s_subb_u32 s22, 0, s9
	v_fmamk_f32 v1, v2, 0x4f800000, v1
	v_rcp_f32_e32 v1, v1
	s_nop 0
	v_mul_f32_e32 v1, 0x5f7ffffc, v1
	v_mul_f32_e32 v2, 0x2f800000, v1
	v_trunc_f32_e32 v2, v2
	v_fmamk_f32 v1, v2, 0xcf800000, v1
	v_cvt_u32_f32_e32 v2, v2
	v_cvt_u32_f32_e32 v1, v1
	v_readfirstlane_b32 s23, v2
	v_readfirstlane_b32 s10, v1
	s_mul_i32 s11, s3, s23
	s_mul_hi_u32 s25, s3, s10
	s_mul_i32 s24, s22, s10
	s_add_i32 s11, s25, s11
	s_add_i32 s11, s11, s24
	s_mul_i32 s26, s3, s10
	s_mul_i32 s25, s10, s11
	s_mul_hi_u32 s27, s10, s26
	s_mul_hi_u32 s24, s10, s11
	s_add_u32 s25, s27, s25
	s_addc_u32 s24, 0, s24
	s_mul_hi_u32 s28, s23, s26
	s_mul_i32 s26, s23, s26
	s_add_u32 s25, s25, s26
	s_mul_hi_u32 s27, s23, s11
	s_addc_u32 s24, s24, s28
	s_addc_u32 s25, s27, 0
	s_mul_i32 s11, s23, s11
	s_add_u32 s11, s24, s11
	s_addc_u32 s24, 0, s25
	s_add_u32 s25, s10, s11
	s_cselect_b64 s[10:11], -1, 0
	s_cmp_lg_u64 s[10:11], 0
	s_addc_u32 s23, s23, s24
	s_mul_i32 s10, s3, s23
	s_mul_hi_u32 s11, s3, s25
	s_add_i32 s10, s11, s10
	s_mul_i32 s22, s22, s25
	s_add_i32 s10, s10, s22
	s_mul_i32 s3, s3, s25
	s_mul_hi_u32 s22, s23, s3
	s_mul_i32 s24, s23, s3
	s_mul_i32 s27, s25, s10
	s_mul_hi_u32 s3, s25, s3
	s_mul_hi_u32 s26, s25, s10
	s_add_u32 s3, s3, s27
	s_addc_u32 s26, 0, s26
	s_add_u32 s3, s3, s24
	s_mul_hi_u32 s11, s23, s10
	s_addc_u32 s3, s26, s22
	s_addc_u32 s11, s11, 0
	s_mul_i32 s10, s23, s10
	s_add_u32 s3, s3, s10
	s_addc_u32 s22, 0, s11
	s_add_u32 s3, s25, s3
	s_cselect_b64 s[10:11], -1, 0
	s_cmp_lg_u64 s[10:11], 0
	s_addc_u32 s24, s23, s22
	s_ashr_i32 s10, s17, 31
	s_add_u32 s22, s16, s10
	s_mov_b32 s11, s10
	s_addc_u32 s23, s17, s10
	s_xor_b64 s[22:23], s[22:23], s[10:11]
	s_mul_i32 s26, s22, s24
	s_mul_hi_u32 s27, s22, s3
	s_mul_hi_u32 s25, s22, s24
	s_add_u32 s26, s27, s26
	s_addc_u32 s25, 0, s25
	s_mul_hi_u32 s28, s23, s3
	s_mul_i32 s3, s23, s3
	s_add_u32 s3, s26, s3
	s_mul_hi_u32 s27, s23, s24
	s_addc_u32 s3, s25, s28
	s_addc_u32 s25, s27, 0
	s_mul_i32 s24, s23, s24
	s_add_u32 s3, s3, s24
	s_addc_u32 s28, 0, s25
	s_mul_i32 s24, s8, s28
	s_mul_hi_u32 s25, s8, s3
	s_add_i32 s24, s25, s24
	s_mul_i32 s25, s9, s3
	s_add_i32 s29, s24, s25
	s_sub_i32 s26, s23, s29
	s_mul_i32 s24, s8, s3
	s_sub_u32 s22, s22, s24
	s_cselect_b64 s[24:25], -1, 0
	s_cmp_lg_u64 s[24:25], 0
	s_subb_u32 s30, s26, s9
	s_sub_u32 s31, s22, s8
	s_cselect_b64 s[26:27], -1, 0
	s_cmp_lg_u64 s[26:27], 0
	s_subb_u32 s26, s30, 0
	s_cmp_ge_u32 s26, s9
	s_cselect_b32 s27, -1, 0
	s_cmp_ge_u32 s31, s8
	s_cselect_b32 s30, -1, 0
	s_cmp_eq_u32 s26, s9
	s_cselect_b32 s26, s30, s27
	s_add_u32 s27, s3, 1
	s_addc_u32 s30, s28, 0
	s_add_u32 s31, s3, 2
	s_addc_u32 s33, s28, 0
	s_cmp_lg_u32 s26, 0
	s_cselect_b32 s26, s31, s27
	s_cselect_b32 s27, s33, s30
	s_cmp_lg_u64 s[24:25], 0
	s_subb_u32 s23, s23, s29
	s_cmp_ge_u32 s23, s9
	s_cselect_b32 s24, -1, 0
	s_cmp_ge_u32 s22, s8
	s_cselect_b32 s8, -1, 0
	s_cmp_eq_u32 s23, s9
	s_cselect_b32 s8, s8, s24
	s_cmp_lg_u32 s8, 0
	s_cselect_b32 s9, s27, s28
	s_cselect_b32 s8, s26, s3
	s_xor_b64 s[4:5], s[10:11], s[4:5]
	s_xor_b64 s[8:9], s[8:9], s[4:5]
	s_sub_u32 s22, s8, s4
	s_subb_u32 s23, s9, s5
	s_cbranch_execnz .LBB12_4
.LBB12_3:
	v_cvt_f32_u32_e32 v1, s18
	s_sub_i32 s3, 0, s18
	s_mov_b32 s23, 0
	v_rcp_iflag_f32_e32 v1, v1
	s_nop 0
	v_mul_f32_e32 v1, 0x4f7ffffe, v1
	v_cvt_u32_f32_e32 v1, v1
	s_nop 0
	v_readfirstlane_b32 s4, v1
	s_mul_i32 s3, s3, s4
	s_mul_hi_u32 s3, s4, s3
	s_add_i32 s4, s4, s3
	s_mul_hi_u32 s3, s16, s4
	s_mul_i32 s5, s3, s18
	s_sub_i32 s5, s16, s5
	s_add_i32 s4, s3, 1
	s_sub_i32 s6, s5, s18
	s_cmp_ge_u32 s5, s18
	s_cselect_b32 s3, s4, s3
	s_cselect_b32 s5, s6, s5
	s_add_i32 s4, s3, 1
	s_cmp_ge_u32 s5, s18
	s_cselect_b32 s22, s4, s3
.LBB12_4:
	s_mul_i32 s24, s15, s14
	v_cmp_gt_i32_e32 vcc, s24, v0
	s_and_saveexec_b64 s[4:5], vcc
	s_cbranch_execz .LBB12_7
; %bb.5:
	s_mul_i32 s3, s22, s19
	s_mul_hi_u32 s19, s22, s18
	s_add_i32 s3, s19, s3
	s_mul_i32 s19, s23, s18
	s_add_i32 s30, s3, s19
	s_mul_i32 s31, s22, s18
	s_sub_u32 s22, s16, s31
	s_subb_u32 s23, s17, s30
	s_ashr_i32 s3, s12, 31
	s_mul_hi_u32 s25, s12, s2
	s_mul_i32 s3, s3, s2
	s_add_i32 s35, s25, s3
	s_abs_i32 s25, s21
	v_cvt_f32_u32_e32 v1, s25
	s_sub_i32 s29, 0, s25
	s_abs_i32 s28, s15
	s_ashr_i32 s3, s13, 31
	v_rcp_iflag_f32_e32 v1, v1
	s_mul_i32 s34, s12, s2
	s_mul_hi_u32 s12, s13, s2
	s_mul_i32 s3, s3, s2
	v_mul_f32_e32 v1, 0x4f7ffffe, v1
	v_cvt_u32_f32_e32 v1, v1
	s_ashr_i32 s26, s15, 31
	s_ashr_i32 s27, s21, 31
	s_add_i32 s3, s12, s3
	v_readfirstlane_b32 s33, v1
	s_mul_i32 s29, s29, s33
	s_mul_hi_u32 s29, s33, s29
	s_add_i32 s29, s33, s29
	s_mul_hi_u32 s33, s28, s29
	s_mul_i32 s36, s33, s25
	s_sub_i32 s36, s28, s36
	s_mul_i32 s2, s13, s2
	s_ashr_i32 s12, s14, 31
	s_xor_b32 s13, s26, s27
	s_add_i32 s37, s33, 1
	s_sub_i32 s38, s36, s25
	s_cmp_ge_u32 s36, s25
	s_cselect_b32 s33, s37, s33
	s_cselect_b32 s36, s38, s36
	s_add_i32 s37, s33, 1
	s_cmp_ge_u32 s36, s25
	s_mul_i32 s12, s31, s12
	s_mul_hi_u32 s36, s31, s14
	s_cselect_b32 s33, s37, s33
	s_mul_i32 s30, s30, s14
	s_add_i32 s12, s36, s12
	s_mul_i32 s31, s31, s14
	s_xor_b32 s33, s33, s13
	s_add_i32 s36, s12, s30
	s_mul_i32 s14, s31, s27
	s_mul_hi_u32 s30, s31, s21
	s_sub_i32 s13, s33, s13
	s_mul_i32 s12, s36, s21
	s_add_i32 s14, s30, s14
	s_ashr_i32 s33, s13, 31
	s_add_i32 s12, s14, s12
	s_mul_i32 s14, s31, s21
	s_load_dwordx8 s[4:11], s[0:1], 0x0
	s_mul_i32 s30, s14, s33
	s_mul_hi_u32 s33, s14, s13
	v_cvt_f32_u32_e32 v1, s28
	s_add_i32 s30, s33, s30
	s_mul_i32 s12, s12, s13
	s_mul_i32 s37, s14, s13
	;; [unrolled: 1-line block ×3, first 2 shown]
	s_add_i32 s33, s30, s12
	s_mul_i32 s30, s14, s13
	s_mul_i32 s12, s22, s27
	s_mul_hi_u32 s13, s22, s21
	s_mul_i32 s38, s31, s26
	s_mul_hi_u32 s39, s31, s15
	s_add_i32 s12, s13, s12
	s_mul_i32 s13, s23, s21
	s_mul_i32 s36, s36, s15
	s_add_i32 s38, s39, s38
	s_add_i32 s13, s12, s13
	;; [unrolled: 1-line block ×3, first 2 shown]
	s_lshl_b64 s[34:35], s[34:35], 1
	v_rcp_iflag_f32_e32 v1, v1
	s_waitcnt lgkmcnt(0)
	s_add_u32 s4, s4, s34
	s_load_dwordx4 s[16:19], s[0:1], 0x40
	s_addc_u32 s5, s5, s35
	s_lshl_b64 s[2:3], s[2:3], 1
	s_add_u32 s6, s6, s2
	s_addc_u32 s7, s7, s3
	v_mul_f32_e32 v1, 0x4f7ffffe, v1
	s_add_u32 s8, s8, s37
	v_cvt_u32_f32_e32 v1, v1
	s_mul_i32 s36, s31, s15
	s_addc_u32 s9, s9, s33
	s_load_dword s2, s[0:1], 0x5c
	s_waitcnt lgkmcnt(0)
	s_load_dword s31, s[16:17], 0x0
	s_add_u32 s10, s10, s36
	s_load_dword s18, s[18:19], 0x0
	s_addc_u32 s11, s11, s38
	s_sub_i32 s0, 0, s28
	v_mul_lo_u32 v2, s0, v1
	v_mul_hi_u32 v2, v1, v2
	s_mul_i32 s12, s22, s21
	s_and_b32 s19, s2, 0xffff
	v_add_u32_e32 v2, v1, v2
	s_sub_i32 s33, 0, s15
	s_sub_i32 s21, 0, s21
	s_mov_b64 s[16:17], 0
	s_mov_b32 s34, 0x7f800000
	s_mov_b32 s35, 0x43e00000
	v_mov_b32_e32 v3, 0xc3e00000
.LBB12_6:                               ; =>This Inner Loop Header: Depth=1
	v_ashrrev_i32_e32 v1, 31, v0
	v_lshlrev_b64 v[4:5], 1, v[0:1]
	v_lshl_add_u64 v[6:7], s[4:5], 0, v[4:5]
	global_load_ushort v12, v[6:7], off
	v_lshl_add_u64 v[4:5], s[6:7], 0, v[4:5]
	global_load_ushort v13, v[4:5], off
	v_sub_u32_e32 v4, 0, v0
	v_max_i32_e32 v4, v0, v4
	v_mul_hi_u32 v6, v4, v2
	v_mul_lo_u32 v7, v6, s28
	v_sub_u32_e32 v4, v4, v7
	v_add_u32_e32 v8, 1, v6
	v_cmp_le_u32_e32 vcc, s28, v4
	v_subrev_u32_e32 v7, s28, v4
	v_xor_b32_e32 v5, s26, v1
	v_cndmask_b32_e32 v6, v6, v8, vcc
	v_cndmask_b32_e32 v4, v4, v7, vcc
	v_add_u32_e32 v7, 1, v6
	v_cmp_le_u32_e32 vcc, s28, v4
	v_mov_b32_e32 v14, 0
	v_mov_b32_e32 v15, 0
	v_cndmask_b32_e32 v4, v6, v7, vcc
	v_xor_b32_e32 v4, v4, v5
	v_sub_u32_e32 v6, v4, v5
	v_mad_u64_u32 v[4:5], s[0:1], s33, v6, v[0:1]
	v_mul_lo_u32 v9, v6, s15
	v_ashrrev_i32_e32 v1, 31, v4
	v_mul_lo_u32 v8, v9, s20
	v_sub_u32_e32 v16, v1, v9
	v_mul_lo_u32 v10, v4, s20
	v_ashrrev_i32_e32 v9, 31, v8
	v_add_u32_e32 v16, v0, v16
	v_xor_b32_e32 v5, s27, v1
	v_ashrrev_i32_e32 v11, 31, v10
	v_lshl_add_u64 v[8:9], s[10:11], 0, v[8:9]
	v_xor_b32_e32 v1, v16, v1
	v_lshl_add_u64 v[8:9], v[8:9], 0, v[10:11]
	v_mul_hi_u32 v10, v1, s29
	v_mul_lo_u32 v11, v10, s25
	v_sub_u32_e32 v1, v1, v11
	v_add_u32_e32 v16, 1, v10
	v_cmp_le_u32_e32 vcc, s25, v1
	v_subrev_u32_e32 v11, s25, v1
	v_mul_lo_u32 v6, s30, v6
	v_cndmask_b32_e32 v10, v10, v16, vcc
	v_cndmask_b32_e32 v1, v1, v11, vcc
	v_add_u32_e32 v11, 1, v10
	v_cmp_le_u32_e32 vcc, s25, v1
	v_ashrrev_i32_e32 v7, 31, v6
	v_lshl_add_u64 v[6:7], s[8:9], 0, v[6:7]
	v_cndmask_b32_e32 v1, v10, v11, vcc
	v_xor_b32_e32 v1, v1, v5
	v_sub_u32_e32 v1, v1, v5
	v_mad_u64_u32 v[4:5], s[2:3], s21, v1, v[4:5]
	v_mul_lo_u32 v10, s14, v1
	v_ashrrev_i32_e32 v11, 31, v10
	v_lshl_add_u64 v[6:7], v[6:7], 0, v[10:11]
	v_add_u32_e32 v0, s19, v0
	v_cmp_le_i32_e64 s[0:1], s24, v0
	v_ashrrev_i32_e32 v5, 31, v4
	v_lshl_add_u64 v[6:7], v[6:7], 0, s[12:13]
	v_lshl_add_u64 v[8:9], v[8:9], 0, s[22:23]
	;; [unrolled: 1-line block ×3, first 2 shown]
	s_or_b64 s[16:17], s[0:1], s[16:17]
	s_waitcnt vmcnt(1)
	v_cvt_f32_f16_e32 v1, v12
	s_waitcnt vmcnt(0)
	v_cvt_f32_f16_e32 v12, v13
	s_waitcnt lgkmcnt(0)
	v_div_scale_f32 v13, s[2:3], s31, s31, v1
	v_div_scale_f32 v17, s[2:3], s18, s18, v12
	v_rcp_f32_e32 v18, v13
	v_rcp_f32_e32 v19, v17
	v_div_scale_f32 v16, vcc, v1, s31, v1
	v_fma_f32 v21, -v13, v18, 1.0
	v_fma_f32 v22, -v17, v19, 1.0
	v_fmac_f32_e32 v18, v21, v18
	v_div_scale_f32 v20, s[2:3], v12, s18, v12
	v_fmac_f32_e32 v19, v22, v19
	v_mul_f32_e32 v21, v16, v18
	v_mul_f32_e32 v22, v20, v19
	v_fma_f32 v23, -v13, v21, v16
	v_fma_f32 v24, -v17, v22, v20
	v_fmac_f32_e32 v21, v23, v18
	v_fmac_f32_e32 v22, v24, v19
	v_fma_f32 v13, -v13, v21, v16
	v_fma_f32 v16, -v17, v22, v20
	v_div_fmas_f32 v13, v13, v18, v21
	s_mov_b64 vcc, s[2:3]
	v_div_fixup_f32 v1, v13, s31, v1
	v_div_fmas_f32 v13, v16, v19, v22
	v_cvt_f16_f32_e32 v1, v1
	v_div_fixup_f32 v12, v13, s18, v12
	v_cvt_f16_f32_e32 v12, v12
	v_cvt_f32_f16_e32 v1, v1
	v_cvt_f32_f16_e32 v10, v12
	v_med3_f32 v11, v1, s35, v3
	v_cmp_nlg_f32_e64 vcc, |v1|, s34
	s_nop 1
	v_cndmask_b32_e32 v1, v11, v1, vcc
	v_med3_f32 v11, v10, s35, v3
	v_cmp_nlg_f32_e64 vcc, |v10|, s34
	v_cvt_pk_fp8_f32 v14, v1, v1
	global_store_byte v[4:5], v14, off
	v_cndmask_b32_e32 v1, v11, v10, vcc
	v_cvt_pk_fp8_f32 v15, v1, v1
	global_store_byte v[8:9], v15, off
	s_andn2_b64 exec, exec, s[16:17]
	s_cbranch_execnz .LBB12_6
.LBB12_7:
	s_endpgm
.LBB12_8:
                                        ; implicit-def: $sgpr22_sgpr23
	s_branch .LBB12_3
	.section	.rodata,"a",@progbits
	.p2align	6, 0x0
	.amdhsa_kernel _ZN4vllm24reshape_and_cache_kernelIthLNS_18Fp8KVCacheDataTypeE1EEEvPKT_S4_PT0_S6_PKliiiiiiPKfSA_
		.amdhsa_group_segment_fixed_size 0
		.amdhsa_private_segment_fixed_size 0
		.amdhsa_kernarg_size 336
		.amdhsa_user_sgpr_count 2
		.amdhsa_user_sgpr_dispatch_ptr 0
		.amdhsa_user_sgpr_queue_ptr 0
		.amdhsa_user_sgpr_kernarg_segment_ptr 1
		.amdhsa_user_sgpr_dispatch_id 0
		.amdhsa_user_sgpr_kernarg_preload_length 0
		.amdhsa_user_sgpr_kernarg_preload_offset 0
		.amdhsa_user_sgpr_private_segment_size 0
		.amdhsa_uses_dynamic_stack 0
		.amdhsa_enable_private_segment 0
		.amdhsa_system_sgpr_workgroup_id_x 1
		.amdhsa_system_sgpr_workgroup_id_y 0
		.amdhsa_system_sgpr_workgroup_id_z 0
		.amdhsa_system_sgpr_workgroup_info 0
		.amdhsa_system_vgpr_workitem_id 0
		.amdhsa_next_free_vgpr 25
		.amdhsa_next_free_sgpr 40
		.amdhsa_accum_offset 28
		.amdhsa_reserve_vcc 1
		.amdhsa_float_round_mode_32 0
		.amdhsa_float_round_mode_16_64 0
		.amdhsa_float_denorm_mode_32 3
		.amdhsa_float_denorm_mode_16_64 3
		.amdhsa_dx10_clamp 1
		.amdhsa_ieee_mode 1
		.amdhsa_fp16_overflow 0
		.amdhsa_tg_split 0
		.amdhsa_exception_fp_ieee_invalid_op 0
		.amdhsa_exception_fp_denorm_src 0
		.amdhsa_exception_fp_ieee_div_zero 0
		.amdhsa_exception_fp_ieee_overflow 0
		.amdhsa_exception_fp_ieee_underflow 0
		.amdhsa_exception_fp_ieee_inexact 0
		.amdhsa_exception_int_div_zero 0
	.end_amdhsa_kernel
	.section	.text._ZN4vllm24reshape_and_cache_kernelIthLNS_18Fp8KVCacheDataTypeE1EEEvPKT_S4_PT0_S6_PKliiiiiiPKfSA_,"axG",@progbits,_ZN4vllm24reshape_and_cache_kernelIthLNS_18Fp8KVCacheDataTypeE1EEEvPKT_S4_PT0_S6_PKliiiiiiPKfSA_,comdat
.Lfunc_end12:
	.size	_ZN4vllm24reshape_and_cache_kernelIthLNS_18Fp8KVCacheDataTypeE1EEEvPKT_S4_PT0_S6_PKliiiiiiPKfSA_, .Lfunc_end12-_ZN4vllm24reshape_and_cache_kernelIthLNS_18Fp8KVCacheDataTypeE1EEEvPKT_S4_PT0_S6_PKliiiiiiPKfSA_
                                        ; -- End function
	.set _ZN4vllm24reshape_and_cache_kernelIthLNS_18Fp8KVCacheDataTypeE1EEEvPKT_S4_PT0_S6_PKliiiiiiPKfSA_.num_vgpr, 25
	.set _ZN4vllm24reshape_and_cache_kernelIthLNS_18Fp8KVCacheDataTypeE1EEEvPKT_S4_PT0_S6_PKliiiiiiPKfSA_.num_agpr, 0
	.set _ZN4vllm24reshape_and_cache_kernelIthLNS_18Fp8KVCacheDataTypeE1EEEvPKT_S4_PT0_S6_PKliiiiiiPKfSA_.numbered_sgpr, 40
	.set _ZN4vllm24reshape_and_cache_kernelIthLNS_18Fp8KVCacheDataTypeE1EEEvPKT_S4_PT0_S6_PKliiiiiiPKfSA_.num_named_barrier, 0
	.set _ZN4vllm24reshape_and_cache_kernelIthLNS_18Fp8KVCacheDataTypeE1EEEvPKT_S4_PT0_S6_PKliiiiiiPKfSA_.private_seg_size, 0
	.set _ZN4vllm24reshape_and_cache_kernelIthLNS_18Fp8KVCacheDataTypeE1EEEvPKT_S4_PT0_S6_PKliiiiiiPKfSA_.uses_vcc, 1
	.set _ZN4vllm24reshape_and_cache_kernelIthLNS_18Fp8KVCacheDataTypeE1EEEvPKT_S4_PT0_S6_PKliiiiiiPKfSA_.uses_flat_scratch, 0
	.set _ZN4vllm24reshape_and_cache_kernelIthLNS_18Fp8KVCacheDataTypeE1EEEvPKT_S4_PT0_S6_PKliiiiiiPKfSA_.has_dyn_sized_stack, 0
	.set _ZN4vllm24reshape_and_cache_kernelIthLNS_18Fp8KVCacheDataTypeE1EEEvPKT_S4_PT0_S6_PKliiiiiiPKfSA_.has_recursion, 0
	.set _ZN4vllm24reshape_and_cache_kernelIthLNS_18Fp8KVCacheDataTypeE1EEEvPKT_S4_PT0_S6_PKliiiiiiPKfSA_.has_indirect_call, 0
	.section	.AMDGPU.csdata,"",@progbits
; Kernel info:
; codeLenInByte = 1876
; TotalNumSgprs: 46
; NumVgprs: 25
; NumAgprs: 0
; TotalNumVgprs: 25
; ScratchSize: 0
; MemoryBound: 0
; FloatMode: 240
; IeeeMode: 1
; LDSByteSize: 0 bytes/workgroup (compile time only)
; SGPRBlocks: 5
; VGPRBlocks: 3
; NumSGPRsForWavesPerEU: 46
; NumVGPRsForWavesPerEU: 25
; AccumOffset: 28
; Occupancy: 8
; WaveLimiterHint : 1
; COMPUTE_PGM_RSRC2:SCRATCH_EN: 0
; COMPUTE_PGM_RSRC2:USER_SGPR: 2
; COMPUTE_PGM_RSRC2:TRAP_HANDLER: 0
; COMPUTE_PGM_RSRC2:TGID_X_EN: 1
; COMPUTE_PGM_RSRC2:TGID_Y_EN: 0
; COMPUTE_PGM_RSRC2:TGID_Z_EN: 0
; COMPUTE_PGM_RSRC2:TIDIG_COMP_CNT: 0
; COMPUTE_PGM_RSRC3_GFX90A:ACCUM_OFFSET: 6
; COMPUTE_PGM_RSRC3_GFX90A:TG_SPLIT: 0
	.section	.text._ZN4vllm24reshape_and_cache_kernelI14__hip_bfloat16hLNS_18Fp8KVCacheDataTypeE1EEEvPKT_S5_PT0_S7_PKliiiiiiPKfSB_,"axG",@progbits,_ZN4vllm24reshape_and_cache_kernelI14__hip_bfloat16hLNS_18Fp8KVCacheDataTypeE1EEEvPKT_S5_PT0_S7_PKliiiiiiPKfSB_,comdat
	.protected	_ZN4vllm24reshape_and_cache_kernelI14__hip_bfloat16hLNS_18Fp8KVCacheDataTypeE1EEEvPKT_S5_PT0_S7_PKliiiiiiPKfSB_ ; -- Begin function _ZN4vllm24reshape_and_cache_kernelI14__hip_bfloat16hLNS_18Fp8KVCacheDataTypeE1EEEvPKT_S5_PT0_S7_PKliiiiiiPKfSB_
	.globl	_ZN4vllm24reshape_and_cache_kernelI14__hip_bfloat16hLNS_18Fp8KVCacheDataTypeE1EEEvPKT_S5_PT0_S7_PKliiiiiiPKfSB_
	.p2align	8
	.type	_ZN4vllm24reshape_and_cache_kernelI14__hip_bfloat16hLNS_18Fp8KVCacheDataTypeE1EEEvPKT_S5_PT0_S7_PKliiiiiiPKfSB_,@function
_ZN4vllm24reshape_and_cache_kernelI14__hip_bfloat16hLNS_18Fp8KVCacheDataTypeE1EEEvPKT_S5_PT0_S7_PKliiiiiiPKfSB_: ; @_ZN4vllm24reshape_and_cache_kernelI14__hip_bfloat16hLNS_18Fp8KVCacheDataTypeE1EEEvPKT_S5_PT0_S7_PKliiiiiiPKfSB_
; %bb.0:
	s_load_dwordx2 s[4:5], s[0:1], 0x20
	s_mov_b32 s3, 0
	s_lshl_b64 s[6:7], s[2:3], 3
	s_waitcnt lgkmcnt(0)
	s_add_u32 s4, s4, s6
	s_addc_u32 s5, s5, s7
	s_load_dwordx2 s[16:17], s[4:5], 0x0
	s_waitcnt lgkmcnt(0)
	v_cmp_lt_i64_e64 s[4:5], s[16:17], 0
	s_and_b64 vcc, exec, s[4:5]
	s_cbranch_vccnz .LBB13_7
; %bb.1:
	s_load_dwordx2 s[20:21], s[0:1], 0x38
	s_load_dwordx4 s[12:15], s[0:1], 0x28
	s_waitcnt lgkmcnt(0)
	s_ashr_i32 s19, s20, 31
	s_mov_b32 s18, s20
	s_or_b64 s[4:5], s[16:17], s[18:19]
	s_mov_b32 s4, s3
	s_cmp_lg_u64 s[4:5], 0
	s_cbranch_scc0 .LBB13_8
; %bb.2:
	s_ashr_i32 s4, s19, 31
	s_add_u32 s6, s18, s4
	s_mov_b32 s5, s4
	s_addc_u32 s7, s19, s4
	s_xor_b64 s[8:9], s[6:7], s[4:5]
	v_cvt_f32_u32_e32 v1, s8
	v_cvt_f32_u32_e32 v2, s9
	s_sub_u32 s3, 0, s8
	s_subb_u32 s22, 0, s9
	v_fmamk_f32 v1, v2, 0x4f800000, v1
	v_rcp_f32_e32 v1, v1
	s_nop 0
	v_mul_f32_e32 v1, 0x5f7ffffc, v1
	v_mul_f32_e32 v2, 0x2f800000, v1
	v_trunc_f32_e32 v2, v2
	v_fmamk_f32 v1, v2, 0xcf800000, v1
	v_cvt_u32_f32_e32 v2, v2
	v_cvt_u32_f32_e32 v1, v1
	v_readfirstlane_b32 s23, v2
	v_readfirstlane_b32 s10, v1
	s_mul_i32 s11, s3, s23
	s_mul_hi_u32 s25, s3, s10
	s_mul_i32 s24, s22, s10
	s_add_i32 s11, s25, s11
	s_add_i32 s11, s11, s24
	s_mul_i32 s26, s3, s10
	s_mul_i32 s25, s10, s11
	s_mul_hi_u32 s27, s10, s26
	s_mul_hi_u32 s24, s10, s11
	s_add_u32 s25, s27, s25
	s_addc_u32 s24, 0, s24
	s_mul_hi_u32 s28, s23, s26
	s_mul_i32 s26, s23, s26
	s_add_u32 s25, s25, s26
	s_mul_hi_u32 s27, s23, s11
	s_addc_u32 s24, s24, s28
	s_addc_u32 s25, s27, 0
	s_mul_i32 s11, s23, s11
	s_add_u32 s11, s24, s11
	s_addc_u32 s24, 0, s25
	s_add_u32 s25, s10, s11
	s_cselect_b64 s[10:11], -1, 0
	s_cmp_lg_u64 s[10:11], 0
	s_addc_u32 s23, s23, s24
	s_mul_i32 s10, s3, s23
	s_mul_hi_u32 s11, s3, s25
	s_add_i32 s10, s11, s10
	s_mul_i32 s22, s22, s25
	s_add_i32 s10, s10, s22
	s_mul_i32 s3, s3, s25
	s_mul_hi_u32 s22, s23, s3
	s_mul_i32 s24, s23, s3
	s_mul_i32 s27, s25, s10
	s_mul_hi_u32 s3, s25, s3
	s_mul_hi_u32 s26, s25, s10
	s_add_u32 s3, s3, s27
	s_addc_u32 s26, 0, s26
	s_add_u32 s3, s3, s24
	s_mul_hi_u32 s11, s23, s10
	s_addc_u32 s3, s26, s22
	s_addc_u32 s11, s11, 0
	s_mul_i32 s10, s23, s10
	s_add_u32 s3, s3, s10
	s_addc_u32 s22, 0, s11
	s_add_u32 s3, s25, s3
	s_cselect_b64 s[10:11], -1, 0
	s_cmp_lg_u64 s[10:11], 0
	s_addc_u32 s24, s23, s22
	s_ashr_i32 s10, s17, 31
	s_add_u32 s22, s16, s10
	s_mov_b32 s11, s10
	s_addc_u32 s23, s17, s10
	s_xor_b64 s[22:23], s[22:23], s[10:11]
	s_mul_i32 s26, s22, s24
	s_mul_hi_u32 s27, s22, s3
	s_mul_hi_u32 s25, s22, s24
	s_add_u32 s26, s27, s26
	s_addc_u32 s25, 0, s25
	s_mul_hi_u32 s28, s23, s3
	s_mul_i32 s3, s23, s3
	s_add_u32 s3, s26, s3
	s_mul_hi_u32 s27, s23, s24
	s_addc_u32 s3, s25, s28
	s_addc_u32 s25, s27, 0
	s_mul_i32 s24, s23, s24
	s_add_u32 s3, s3, s24
	s_addc_u32 s28, 0, s25
	s_mul_i32 s24, s8, s28
	s_mul_hi_u32 s25, s8, s3
	s_add_i32 s24, s25, s24
	s_mul_i32 s25, s9, s3
	s_add_i32 s29, s24, s25
	s_sub_i32 s26, s23, s29
	s_mul_i32 s24, s8, s3
	s_sub_u32 s22, s22, s24
	s_cselect_b64 s[24:25], -1, 0
	s_cmp_lg_u64 s[24:25], 0
	s_subb_u32 s30, s26, s9
	s_sub_u32 s31, s22, s8
	s_cselect_b64 s[26:27], -1, 0
	s_cmp_lg_u64 s[26:27], 0
	s_subb_u32 s26, s30, 0
	s_cmp_ge_u32 s26, s9
	s_cselect_b32 s27, -1, 0
	s_cmp_ge_u32 s31, s8
	s_cselect_b32 s30, -1, 0
	s_cmp_eq_u32 s26, s9
	s_cselect_b32 s26, s30, s27
	s_add_u32 s27, s3, 1
	s_addc_u32 s30, s28, 0
	s_add_u32 s31, s3, 2
	s_addc_u32 s33, s28, 0
	s_cmp_lg_u32 s26, 0
	s_cselect_b32 s26, s31, s27
	s_cselect_b32 s27, s33, s30
	s_cmp_lg_u64 s[24:25], 0
	s_subb_u32 s23, s23, s29
	s_cmp_ge_u32 s23, s9
	s_cselect_b32 s24, -1, 0
	s_cmp_ge_u32 s22, s8
	s_cselect_b32 s8, -1, 0
	s_cmp_eq_u32 s23, s9
	s_cselect_b32 s8, s8, s24
	s_cmp_lg_u32 s8, 0
	s_cselect_b32 s9, s27, s28
	s_cselect_b32 s8, s26, s3
	s_xor_b64 s[4:5], s[10:11], s[4:5]
	s_xor_b64 s[8:9], s[8:9], s[4:5]
	s_sub_u32 s22, s8, s4
	s_subb_u32 s23, s9, s5
	s_cbranch_execnz .LBB13_4
.LBB13_3:
	v_cvt_f32_u32_e32 v1, s18
	s_sub_i32 s3, 0, s18
	s_mov_b32 s23, 0
	v_rcp_iflag_f32_e32 v1, v1
	s_nop 0
	v_mul_f32_e32 v1, 0x4f7ffffe, v1
	v_cvt_u32_f32_e32 v1, v1
	s_nop 0
	v_readfirstlane_b32 s4, v1
	s_mul_i32 s3, s3, s4
	s_mul_hi_u32 s3, s4, s3
	s_add_i32 s4, s4, s3
	s_mul_hi_u32 s3, s16, s4
	s_mul_i32 s5, s3, s18
	s_sub_i32 s5, s16, s5
	s_add_i32 s4, s3, 1
	s_sub_i32 s6, s5, s18
	s_cmp_ge_u32 s5, s18
	s_cselect_b32 s3, s4, s3
	s_cselect_b32 s5, s6, s5
	s_add_i32 s4, s3, 1
	s_cmp_ge_u32 s5, s18
	s_cselect_b32 s22, s4, s3
.LBB13_4:
	s_mul_i32 s24, s15, s14
	v_cmp_gt_i32_e32 vcc, s24, v0
	s_and_saveexec_b64 s[4:5], vcc
	s_cbranch_execz .LBB13_7
; %bb.5:
	s_mul_i32 s3, s22, s19
	s_mul_hi_u32 s19, s22, s18
	s_add_i32 s3, s19, s3
	s_mul_i32 s19, s23, s18
	s_add_i32 s30, s3, s19
	s_mul_i32 s31, s22, s18
	s_sub_u32 s22, s16, s31
	s_subb_u32 s23, s17, s30
	s_ashr_i32 s3, s12, 31
	s_mul_hi_u32 s25, s12, s2
	s_mul_i32 s3, s3, s2
	s_add_i32 s35, s25, s3
	s_abs_i32 s25, s21
	v_cvt_f32_u32_e32 v1, s25
	s_sub_i32 s29, 0, s25
	s_abs_i32 s28, s15
	s_ashr_i32 s3, s13, 31
	v_rcp_iflag_f32_e32 v1, v1
	s_mul_i32 s34, s12, s2
	s_mul_hi_u32 s12, s13, s2
	s_mul_i32 s3, s3, s2
	v_mul_f32_e32 v1, 0x4f7ffffe, v1
	v_cvt_u32_f32_e32 v1, v1
	s_ashr_i32 s26, s15, 31
	s_ashr_i32 s27, s21, 31
	s_add_i32 s3, s12, s3
	v_readfirstlane_b32 s33, v1
	s_mul_i32 s29, s29, s33
	s_mul_hi_u32 s29, s33, s29
	s_add_i32 s29, s33, s29
	s_mul_hi_u32 s33, s28, s29
	s_mul_i32 s36, s33, s25
	s_sub_i32 s36, s28, s36
	s_mul_i32 s2, s13, s2
	s_ashr_i32 s12, s14, 31
	s_xor_b32 s13, s26, s27
	s_add_i32 s37, s33, 1
	s_sub_i32 s38, s36, s25
	s_cmp_ge_u32 s36, s25
	s_cselect_b32 s33, s37, s33
	s_cselect_b32 s36, s38, s36
	s_add_i32 s37, s33, 1
	s_cmp_ge_u32 s36, s25
	s_mul_i32 s12, s31, s12
	s_mul_hi_u32 s36, s31, s14
	s_cselect_b32 s33, s37, s33
	s_mul_i32 s30, s30, s14
	s_add_i32 s12, s36, s12
	s_mul_i32 s31, s31, s14
	s_xor_b32 s33, s33, s13
	s_add_i32 s36, s12, s30
	s_mul_i32 s14, s31, s27
	s_mul_hi_u32 s30, s31, s21
	s_sub_i32 s13, s33, s13
	s_mul_i32 s12, s36, s21
	s_add_i32 s14, s30, s14
	s_ashr_i32 s33, s13, 31
	s_add_i32 s12, s14, s12
	s_mul_i32 s14, s31, s21
	s_load_dwordx8 s[4:11], s[0:1], 0x0
	s_mul_i32 s30, s14, s33
	s_mul_hi_u32 s33, s14, s13
	v_cvt_f32_u32_e32 v1, s28
	s_add_i32 s30, s33, s30
	s_mul_i32 s12, s12, s13
	s_mul_i32 s37, s14, s13
	s_mul_i32 s14, s21, s20
	s_add_i32 s33, s30, s12
	s_mul_i32 s30, s14, s13
	s_mul_i32 s12, s22, s27
	s_mul_hi_u32 s13, s22, s21
	s_mul_i32 s38, s31, s26
	s_mul_hi_u32 s39, s31, s15
	s_add_i32 s12, s13, s12
	s_mul_i32 s13, s23, s21
	s_mul_i32 s36, s36, s15
	s_add_i32 s38, s39, s38
	s_add_i32 s13, s12, s13
	;; [unrolled: 1-line block ×3, first 2 shown]
	s_lshl_b64 s[34:35], s[34:35], 1
	v_rcp_iflag_f32_e32 v1, v1
	s_waitcnt lgkmcnt(0)
	s_add_u32 s4, s4, s34
	s_load_dwordx4 s[16:19], s[0:1], 0x40
	s_addc_u32 s5, s5, s35
	s_lshl_b64 s[2:3], s[2:3], 1
	s_add_u32 s6, s6, s2
	s_addc_u32 s7, s7, s3
	v_mul_f32_e32 v1, 0x4f7ffffe, v1
	s_add_u32 s8, s8, s37
	v_cvt_u32_f32_e32 v1, v1
	s_mul_i32 s36, s31, s15
	s_addc_u32 s9, s9, s33
	s_load_dword s2, s[0:1], 0x5c
	s_waitcnt lgkmcnt(0)
	s_load_dword s31, s[16:17], 0x0
	s_add_u32 s10, s10, s36
	s_load_dword s18, s[18:19], 0x0
	s_addc_u32 s11, s11, s38
	s_sub_i32 s0, 0, s28
	v_mul_lo_u32 v2, s0, v1
	v_mul_hi_u32 v2, v1, v2
	s_mul_i32 s12, s22, s21
	s_and_b32 s19, s2, 0xffff
	v_add_u32_e32 v2, v1, v2
	s_sub_i32 s33, 0, s15
	s_sub_i32 s21, 0, s21
	s_mov_b64 s[16:17], 0
	s_mov_b32 s34, 0x7f800000
	s_mov_b32 s35, 0x43e00000
	v_mov_b32_e32 v3, 0xc3e00000
.LBB13_6:                               ; =>This Inner Loop Header: Depth=1
	v_ashrrev_i32_e32 v1, 31, v0
	v_lshlrev_b64 v[4:5], 1, v[0:1]
	v_lshl_add_u64 v[6:7], s[4:5], 0, v[4:5]
	v_lshl_add_u64 v[4:5], s[6:7], 0, v[4:5]
	global_load_ushort v12, v[6:7], off
	global_load_ushort v13, v[4:5], off
	v_sub_u32_e32 v4, 0, v0
	v_max_i32_e32 v4, v0, v4
	v_mul_hi_u32 v6, v4, v2
	v_mul_lo_u32 v7, v6, s28
	v_sub_u32_e32 v4, v4, v7
	v_add_u32_e32 v8, 1, v6
	v_cmp_le_u32_e32 vcc, s28, v4
	v_subrev_u32_e32 v7, s28, v4
	v_xor_b32_e32 v5, s26, v1
	v_cndmask_b32_e32 v6, v6, v8, vcc
	v_cndmask_b32_e32 v4, v4, v7, vcc
	v_add_u32_e32 v7, 1, v6
	v_cmp_le_u32_e32 vcc, s28, v4
	v_mov_b32_e32 v14, 0
	v_mov_b32_e32 v15, 0
	v_cndmask_b32_e32 v4, v6, v7, vcc
	v_xor_b32_e32 v4, v4, v5
	v_sub_u32_e32 v6, v4, v5
	v_mad_u64_u32 v[4:5], s[0:1], s33, v6, v[0:1]
	v_mul_lo_u32 v9, v6, s15
	v_ashrrev_i32_e32 v1, 31, v4
	v_mul_lo_u32 v8, v9, s20
	v_sub_u32_e32 v16, v1, v9
	v_mul_lo_u32 v10, v4, s20
	v_ashrrev_i32_e32 v9, 31, v8
	v_add_u32_e32 v16, v0, v16
	v_xor_b32_e32 v5, s27, v1
	v_ashrrev_i32_e32 v11, 31, v10
	v_lshl_add_u64 v[8:9], s[10:11], 0, v[8:9]
	v_xor_b32_e32 v1, v16, v1
	v_lshl_add_u64 v[8:9], v[8:9], 0, v[10:11]
	v_mul_hi_u32 v10, v1, s29
	v_mul_lo_u32 v11, v10, s25
	v_sub_u32_e32 v1, v1, v11
	v_add_u32_e32 v16, 1, v10
	v_cmp_le_u32_e32 vcc, s25, v1
	v_subrev_u32_e32 v11, s25, v1
	v_mul_lo_u32 v6, s30, v6
	v_cndmask_b32_e32 v10, v10, v16, vcc
	v_cndmask_b32_e32 v1, v1, v11, vcc
	v_add_u32_e32 v11, 1, v10
	v_cmp_le_u32_e32 vcc, s25, v1
	v_ashrrev_i32_e32 v7, 31, v6
	v_lshl_add_u64 v[6:7], s[8:9], 0, v[6:7]
	v_cndmask_b32_e32 v1, v10, v11, vcc
	v_xor_b32_e32 v1, v1, v5
	v_sub_u32_e32 v1, v1, v5
	v_mul_lo_u32 v10, s14, v1
	v_mad_u64_u32 v[4:5], s[2:3], s21, v1, v[4:5]
	v_ashrrev_i32_e32 v11, 31, v10
	v_lshl_add_u64 v[6:7], v[6:7], 0, v[10:11]
	v_add_u32_e32 v0, s19, v0
	v_cmp_le_i32_e64 s[0:1], s24, v0
	v_ashrrev_i32_e32 v5, 31, v4
	v_lshl_add_u64 v[6:7], v[6:7], 0, s[12:13]
	v_lshl_add_u64 v[8:9], v[8:9], 0, s[22:23]
	;; [unrolled: 1-line block ×3, first 2 shown]
	s_or_b64 s[16:17], s[0:1], s[16:17]
	s_waitcnt vmcnt(1)
	v_lshlrev_b32_e32 v1, 16, v12
	s_waitcnt vmcnt(0)
	v_lshlrev_b32_e32 v10, 16, v13
	s_waitcnt lgkmcnt(0)
	v_div_scale_f32 v11, s[2:3], s31, s31, v1
	v_div_scale_f32 v13, s[2:3], s18, s18, v10
	v_rcp_f32_e32 v16, v11
	v_rcp_f32_e32 v17, v13
	v_div_scale_f32 v12, vcc, v1, s31, v1
	v_fma_f32 v19, -v11, v16, 1.0
	v_fma_f32 v20, -v13, v17, 1.0
	v_fmac_f32_e32 v16, v19, v16
	v_div_scale_f32 v18, s[2:3], v10, s18, v10
	v_fmac_f32_e32 v17, v20, v17
	v_mul_f32_e32 v19, v12, v16
	v_mul_f32_e32 v20, v18, v17
	v_fma_f32 v21, -v11, v19, v12
	v_fma_f32 v22, -v13, v20, v18
	v_fmac_f32_e32 v19, v21, v16
	v_fmac_f32_e32 v20, v22, v17
	v_fma_f32 v11, -v11, v19, v12
	v_fma_f32 v12, -v13, v20, v18
	v_div_fmas_f32 v11, v11, v16, v19
	s_mov_b64 vcc, s[2:3]
	v_div_fixup_f32 v1, v11, s31, v1
	v_div_fmas_f32 v11, v12, v17, v20
	v_med3_f32 v12, v1, s35, v3
	v_div_fixup_f32 v10, v11, s18, v10
	v_cmp_nlg_f32_e64 vcc, |v1|, s34
	v_med3_f32 v11, v10, s35, v3
	s_nop 0
	v_cndmask_b32_e32 v1, v12, v1, vcc
	v_cmp_nlg_f32_e64 vcc, |v10|, s34
	v_cvt_pk_fp8_f32 v14, v1, v1
	global_store_byte v[4:5], v14, off
	v_cndmask_b32_e32 v1, v11, v10, vcc
	v_cvt_pk_fp8_f32 v15, v1, v1
	global_store_byte v[8:9], v15, off
	s_andn2_b64 exec, exec, s[16:17]
	s_cbranch_execnz .LBB13_6
.LBB13_7:
	s_endpgm
.LBB13_8:
                                        ; implicit-def: $sgpr22_sgpr23
	s_branch .LBB13_3
	.section	.rodata,"a",@progbits
	.p2align	6, 0x0
	.amdhsa_kernel _ZN4vllm24reshape_and_cache_kernelI14__hip_bfloat16hLNS_18Fp8KVCacheDataTypeE1EEEvPKT_S5_PT0_S7_PKliiiiiiPKfSB_
		.amdhsa_group_segment_fixed_size 0
		.amdhsa_private_segment_fixed_size 0
		.amdhsa_kernarg_size 336
		.amdhsa_user_sgpr_count 2
		.amdhsa_user_sgpr_dispatch_ptr 0
		.amdhsa_user_sgpr_queue_ptr 0
		.amdhsa_user_sgpr_kernarg_segment_ptr 1
		.amdhsa_user_sgpr_dispatch_id 0
		.amdhsa_user_sgpr_kernarg_preload_length 0
		.amdhsa_user_sgpr_kernarg_preload_offset 0
		.amdhsa_user_sgpr_private_segment_size 0
		.amdhsa_uses_dynamic_stack 0
		.amdhsa_enable_private_segment 0
		.amdhsa_system_sgpr_workgroup_id_x 1
		.amdhsa_system_sgpr_workgroup_id_y 0
		.amdhsa_system_sgpr_workgroup_id_z 0
		.amdhsa_system_sgpr_workgroup_info 0
		.amdhsa_system_vgpr_workitem_id 0
		.amdhsa_next_free_vgpr 23
		.amdhsa_next_free_sgpr 40
		.amdhsa_accum_offset 24
		.amdhsa_reserve_vcc 1
		.amdhsa_float_round_mode_32 0
		.amdhsa_float_round_mode_16_64 0
		.amdhsa_float_denorm_mode_32 3
		.amdhsa_float_denorm_mode_16_64 3
		.amdhsa_dx10_clamp 1
		.amdhsa_ieee_mode 1
		.amdhsa_fp16_overflow 0
		.amdhsa_tg_split 0
		.amdhsa_exception_fp_ieee_invalid_op 0
		.amdhsa_exception_fp_denorm_src 0
		.amdhsa_exception_fp_ieee_div_zero 0
		.amdhsa_exception_fp_ieee_overflow 0
		.amdhsa_exception_fp_ieee_underflow 0
		.amdhsa_exception_fp_ieee_inexact 0
		.amdhsa_exception_int_div_zero 0
	.end_amdhsa_kernel
	.section	.text._ZN4vllm24reshape_and_cache_kernelI14__hip_bfloat16hLNS_18Fp8KVCacheDataTypeE1EEEvPKT_S5_PT0_S7_PKliiiiiiPKfSB_,"axG",@progbits,_ZN4vllm24reshape_and_cache_kernelI14__hip_bfloat16hLNS_18Fp8KVCacheDataTypeE1EEEvPKT_S5_PT0_S7_PKliiiiiiPKfSB_,comdat
.Lfunc_end13:
	.size	_ZN4vllm24reshape_and_cache_kernelI14__hip_bfloat16hLNS_18Fp8KVCacheDataTypeE1EEEvPKT_S5_PT0_S7_PKliiiiiiPKfSB_, .Lfunc_end13-_ZN4vllm24reshape_and_cache_kernelI14__hip_bfloat16hLNS_18Fp8KVCacheDataTypeE1EEEvPKT_S5_PT0_S7_PKliiiiiiPKfSB_
                                        ; -- End function
	.set _ZN4vllm24reshape_and_cache_kernelI14__hip_bfloat16hLNS_18Fp8KVCacheDataTypeE1EEEvPKT_S5_PT0_S7_PKliiiiiiPKfSB_.num_vgpr, 23
	.set _ZN4vllm24reshape_and_cache_kernelI14__hip_bfloat16hLNS_18Fp8KVCacheDataTypeE1EEEvPKT_S5_PT0_S7_PKliiiiiiPKfSB_.num_agpr, 0
	.set _ZN4vllm24reshape_and_cache_kernelI14__hip_bfloat16hLNS_18Fp8KVCacheDataTypeE1EEEvPKT_S5_PT0_S7_PKliiiiiiPKfSB_.numbered_sgpr, 40
	.set _ZN4vllm24reshape_and_cache_kernelI14__hip_bfloat16hLNS_18Fp8KVCacheDataTypeE1EEEvPKT_S5_PT0_S7_PKliiiiiiPKfSB_.num_named_barrier, 0
	.set _ZN4vllm24reshape_and_cache_kernelI14__hip_bfloat16hLNS_18Fp8KVCacheDataTypeE1EEEvPKT_S5_PT0_S7_PKliiiiiiPKfSB_.private_seg_size, 0
	.set _ZN4vllm24reshape_and_cache_kernelI14__hip_bfloat16hLNS_18Fp8KVCacheDataTypeE1EEEvPKT_S5_PT0_S7_PKliiiiiiPKfSB_.uses_vcc, 1
	.set _ZN4vllm24reshape_and_cache_kernelI14__hip_bfloat16hLNS_18Fp8KVCacheDataTypeE1EEEvPKT_S5_PT0_S7_PKliiiiiiPKfSB_.uses_flat_scratch, 0
	.set _ZN4vllm24reshape_and_cache_kernelI14__hip_bfloat16hLNS_18Fp8KVCacheDataTypeE1EEEvPKT_S5_PT0_S7_PKliiiiiiPKfSB_.has_dyn_sized_stack, 0
	.set _ZN4vllm24reshape_and_cache_kernelI14__hip_bfloat16hLNS_18Fp8KVCacheDataTypeE1EEEvPKT_S5_PT0_S7_PKliiiiiiPKfSB_.has_recursion, 0
	.set _ZN4vllm24reshape_and_cache_kernelI14__hip_bfloat16hLNS_18Fp8KVCacheDataTypeE1EEEvPKT_S5_PT0_S7_PKliiiiiiPKfSB_.has_indirect_call, 0
	.section	.AMDGPU.csdata,"",@progbits
; Kernel info:
; codeLenInByte = 1860
; TotalNumSgprs: 46
; NumVgprs: 23
; NumAgprs: 0
; TotalNumVgprs: 23
; ScratchSize: 0
; MemoryBound: 0
; FloatMode: 240
; IeeeMode: 1
; LDSByteSize: 0 bytes/workgroup (compile time only)
; SGPRBlocks: 5
; VGPRBlocks: 2
; NumSGPRsForWavesPerEU: 46
; NumVGPRsForWavesPerEU: 23
; AccumOffset: 24
; Occupancy: 8
; WaveLimiterHint : 1
; COMPUTE_PGM_RSRC2:SCRATCH_EN: 0
; COMPUTE_PGM_RSRC2:USER_SGPR: 2
; COMPUTE_PGM_RSRC2:TRAP_HANDLER: 0
; COMPUTE_PGM_RSRC2:TGID_X_EN: 1
; COMPUTE_PGM_RSRC2:TGID_Y_EN: 0
; COMPUTE_PGM_RSRC2:TGID_Z_EN: 0
; COMPUTE_PGM_RSRC2:TIDIG_COMP_CNT: 0
; COMPUTE_PGM_RSRC3_GFX90A:ACCUM_OFFSET: 5
; COMPUTE_PGM_RSRC3_GFX90A:TG_SPLIT: 0
	.section	.text._ZN4vllm30reshape_and_cache_flash_kernelIffLNS_18Fp8KVCacheDataTypeE0EEEvPKT_S4_PT0_S6_PKlllllliiiPKfSA_,"axG",@progbits,_ZN4vllm30reshape_and_cache_flash_kernelIffLNS_18Fp8KVCacheDataTypeE0EEEvPKT_S4_PT0_S6_PKlllllliiiPKfSA_,comdat
	.protected	_ZN4vllm30reshape_and_cache_flash_kernelIffLNS_18Fp8KVCacheDataTypeE0EEEvPKT_S4_PT0_S6_PKlllllliiiPKfSA_ ; -- Begin function _ZN4vllm30reshape_and_cache_flash_kernelIffLNS_18Fp8KVCacheDataTypeE0EEEvPKT_S4_PT0_S6_PKlllllliiiPKfSA_
	.globl	_ZN4vllm30reshape_and_cache_flash_kernelIffLNS_18Fp8KVCacheDataTypeE0EEEvPKT_S4_PT0_S6_PKlllllliiiPKfSA_
	.p2align	8
	.type	_ZN4vllm30reshape_and_cache_flash_kernelIffLNS_18Fp8KVCacheDataTypeE0EEEvPKT_S4_PT0_S6_PKlllllliiiPKfSA_,@function
_ZN4vllm30reshape_and_cache_flash_kernelIffLNS_18Fp8KVCacheDataTypeE0EEEvPKT_S4_PT0_S6_PKlllllliiiPKfSA_: ; @_ZN4vllm30reshape_and_cache_flash_kernelIffLNS_18Fp8KVCacheDataTypeE0EEEvPKT_S4_PT0_S6_PKlllllliiiPKfSA_
; %bb.0:
	s_load_dwordx2 s[4:5], s[0:1], 0x20
	s_mov_b32 s3, 0
	s_lshl_b64 s[6:7], s[2:3], 3
	s_waitcnt lgkmcnt(0)
	s_add_u32 s4, s4, s6
	s_addc_u32 s5, s5, s7
	s_load_dwordx2 s[4:5], s[4:5], 0x0
	s_waitcnt lgkmcnt(0)
	v_cmp_lt_i64_e64 s[6:7], s[4:5], 0
	s_and_b64 vcc, exec, s[6:7]
	s_cbranch_vccnz .LBB14_139
; %bb.1:
	s_load_dwordx4 s[24:27], s[0:1], 0x50
	s_load_dwordx8 s[8:15], s[0:1], 0x0
	s_waitcnt lgkmcnt(0)
	s_ashr_i32 s27, s26, 31
	s_or_b64 s[6:7], s[4:5], s[26:27]
	s_mov_b32 s6, s3
	s_cmp_lg_u64 s[6:7], 0
	s_cbranch_scc0 .LBB14_140
; %bb.2:
	s_ashr_i32 s6, s27, 31
	s_add_u32 s16, s26, s6
	s_mov_b32 s7, s6
	s_addc_u32 s17, s27, s6
	s_xor_b64 s[18:19], s[16:17], s[6:7]
	v_cvt_f32_u32_e32 v1, s18
	v_cvt_f32_u32_e32 v2, s19
	s_sub_u32 s3, 0, s18
	s_subb_u32 s22, 0, s19
	v_fmamk_f32 v1, v2, 0x4f800000, v1
	v_rcp_f32_e32 v1, v1
	s_nop 0
	v_mul_f32_e32 v1, 0x5f7ffffc, v1
	v_mul_f32_e32 v2, 0x2f800000, v1
	v_trunc_f32_e32 v2, v2
	v_fmamk_f32 v1, v2, 0xcf800000, v1
	v_cvt_u32_f32_e32 v2, v2
	v_cvt_u32_f32_e32 v1, v1
	v_readfirstlane_b32 s23, v2
	v_readfirstlane_b32 s20, v1
	s_mul_i32 s21, s3, s23
	s_mul_hi_u32 s29, s3, s20
	s_mul_i32 s28, s22, s20
	s_add_i32 s21, s29, s21
	s_add_i32 s21, s21, s28
	s_mul_i32 s30, s3, s20
	s_mul_i32 s29, s20, s21
	s_mul_hi_u32 s31, s20, s30
	s_mul_hi_u32 s28, s20, s21
	s_add_u32 s29, s31, s29
	s_addc_u32 s28, 0, s28
	s_mul_hi_u32 s33, s23, s30
	s_mul_i32 s30, s23, s30
	s_add_u32 s29, s29, s30
	s_mul_hi_u32 s31, s23, s21
	s_addc_u32 s28, s28, s33
	s_addc_u32 s29, s31, 0
	s_mul_i32 s21, s23, s21
	s_add_u32 s21, s28, s21
	s_addc_u32 s28, 0, s29
	s_add_u32 s29, s20, s21
	s_cselect_b64 s[20:21], -1, 0
	s_cmp_lg_u64 s[20:21], 0
	s_addc_u32 s23, s23, s28
	s_mul_i32 s20, s3, s23
	s_mul_hi_u32 s21, s3, s29
	s_add_i32 s20, s21, s20
	s_mul_i32 s22, s22, s29
	s_add_i32 s20, s20, s22
	s_mul_i32 s3, s3, s29
	s_mul_hi_u32 s22, s23, s3
	s_mul_i32 s28, s23, s3
	s_mul_i32 s31, s29, s20
	s_mul_hi_u32 s3, s29, s3
	s_mul_hi_u32 s30, s29, s20
	s_add_u32 s3, s3, s31
	s_addc_u32 s30, 0, s30
	s_add_u32 s3, s3, s28
	s_mul_hi_u32 s21, s23, s20
	s_addc_u32 s3, s30, s22
	s_addc_u32 s21, s21, 0
	s_mul_i32 s20, s23, s20
	s_add_u32 s3, s3, s20
	s_addc_u32 s22, 0, s21
	s_add_u32 s3, s29, s3
	s_cselect_b64 s[20:21], -1, 0
	s_cmp_lg_u64 s[20:21], 0
	s_addc_u32 s28, s23, s22
	s_ashr_i32 s20, s5, 31
	s_add_u32 s22, s4, s20
	s_mov_b32 s21, s20
	s_addc_u32 s23, s5, s20
	s_xor_b64 s[22:23], s[22:23], s[20:21]
	s_mul_i32 s30, s22, s28
	s_mul_hi_u32 s31, s22, s3
	s_mul_hi_u32 s29, s22, s28
	s_add_u32 s30, s31, s30
	s_addc_u32 s29, 0, s29
	s_mul_hi_u32 s33, s23, s3
	s_mul_i32 s3, s23, s3
	s_add_u32 s3, s30, s3
	s_mul_hi_u32 s31, s23, s28
	s_addc_u32 s3, s29, s33
	s_addc_u32 s29, s31, 0
	s_mul_i32 s28, s23, s28
	s_add_u32 s3, s3, s28
	s_addc_u32 s33, 0, s29
	s_mul_i32 s28, s18, s33
	s_mul_hi_u32 s29, s18, s3
	s_add_i32 s28, s29, s28
	s_mul_i32 s29, s19, s3
	s_add_i32 s34, s28, s29
	s_sub_i32 s30, s23, s34
	s_mul_i32 s28, s18, s3
	s_sub_u32 s22, s22, s28
	s_cselect_b64 s[28:29], -1, 0
	s_cmp_lg_u64 s[28:29], 0
	s_subb_u32 s35, s30, s19
	s_sub_u32 s36, s22, s18
	s_cselect_b64 s[30:31], -1, 0
	s_cmp_lg_u64 s[30:31], 0
	s_subb_u32 s30, s35, 0
	s_cmp_ge_u32 s30, s19
	s_cselect_b32 s31, -1, 0
	s_cmp_ge_u32 s36, s18
	s_cselect_b32 s35, -1, 0
	s_cmp_eq_u32 s30, s19
	s_cselect_b32 s30, s35, s31
	s_add_u32 s31, s3, 1
	s_addc_u32 s35, s33, 0
	s_add_u32 s36, s3, 2
	s_addc_u32 s37, s33, 0
	s_cmp_lg_u32 s30, 0
	s_cselect_b32 s30, s36, s31
	s_cselect_b32 s31, s37, s35
	s_cmp_lg_u64 s[28:29], 0
	s_subb_u32 s23, s23, s34
	s_cmp_ge_u32 s23, s19
	s_cselect_b32 s28, -1, 0
	s_cmp_ge_u32 s22, s18
	s_cselect_b32 s18, -1, 0
	s_cmp_eq_u32 s23, s19
	s_cselect_b32 s18, s18, s28
	s_cmp_lg_u32 s18, 0
	s_cselect_b32 s19, s31, s33
	s_cselect_b32 s18, s30, s3
	s_xor_b64 s[6:7], s[20:21], s[6:7]
	s_xor_b64 s[18:19], s[18:19], s[6:7]
	s_sub_u32 s6, s18, s6
	s_subb_u32 s7, s19, s7
	s_cbranch_execnz .LBB14_4
.LBB14_3:
	v_cvt_f32_u32_e32 v1, s26
	s_sub_i32 s3, 0, s26
	s_mov_b32 s7, 0
	v_rcp_iflag_f32_e32 v1, v1
	s_nop 0
	v_mul_f32_e32 v1, 0x4f7ffffe, v1
	v_cvt_u32_f32_e32 v1, v1
	s_nop 0
	v_readfirstlane_b32 s6, v1
	s_mul_i32 s3, s3, s6
	s_mul_hi_u32 s3, s6, s3
	s_add_i32 s6, s6, s3
	s_mul_hi_u32 s3, s4, s6
	s_mul_i32 s16, s3, s26
	s_sub_i32 s16, s4, s16
	s_add_i32 s6, s3, 1
	s_sub_i32 s17, s16, s26
	s_cmp_ge_u32 s16, s26
	s_cselect_b32 s3, s6, s3
	s_cselect_b32 s16, s17, s16
	s_add_i32 s6, s3, 1
	s_cmp_ge_u32 s16, s26
	s_cselect_b32 s6, s6, s3
.LBB14_4:
	s_load_dwordx8 s[16:23], s[0:1], 0x28
	s_load_dwordx2 s[34:35], s[0:1], 0x48
	s_mul_i32 s3, s6, s27
	s_mul_hi_u32 s27, s6, s26
	s_add_i32 s3, s27, s3
	s_mul_i32 s27, s7, s26
	s_add_i32 s3, s3, s27
	s_mul_i32 s26, s6, s26
	s_sub_u32 s33, s4, s26
	s_subb_u32 s3, s5, s3
	s_waitcnt lgkmcnt(0)
	s_mul_i32 s4, s23, s2
	s_mul_hi_u32 s5, s22, s2
	s_add_i32 s5, s5, s4
	s_mul_i32 s4, s22, s2
	s_lshl_b64 s[28:29], s[4:5], 2
	s_add_u32 s30, s8, s28
	s_load_dword s36, s[0:1], 0x7c
	s_mul_i32 s0, s35, s2
	s_mul_hi_u32 s1, s34, s2
	s_addc_u32 s31, s9, s29
	s_add_i32 s1, s1, s0
	s_mul_i32 s0, s34, s2
	s_lshl_b64 s[22:23], s[0:1], 2
	s_add_u32 s26, s10, s22
	s_mul_i32 s0, s6, s17
	s_mul_hi_u32 s1, s6, s16
	s_addc_u32 s27, s11, s23
	s_add_i32 s0, s1, s0
	s_mul_i32 s1, s7, s16
	s_add_i32 s1, s0, s1
	s_mul_i32 s0, s6, s16
	s_lshl_b64 s[4:5], s[0:1], 2
	s_add_u32 s2, s12, s4
	s_mul_i32 s0, s33, s19
	s_mul_hi_u32 s1, s33, s18
	s_addc_u32 s6, s13, s5
	s_add_i32 s0, s1, s0
	s_mul_i32 s3, s3, s18
	s_add_i32 s1, s0, s3
	s_mul_i32 s0, s33, s18
	s_lshl_b64 s[34:35], s[0:1], 2
	s_add_u32 s16, s2, s34
	s_addc_u32 s17, s6, s35
	s_add_u32 s0, s14, s4
	s_addc_u32 s1, s15, s5
	s_add_u32 s6, s0, s34
	s_addc_u32 s7, s1, s35
	s_ashr_i32 s1, s25, 31
	s_mov_b32 s0, s25
	s_waitcnt lgkmcnt(0)
	s_and_b32 s33, s36, 0xffff
	s_cmp_lg_u64 s[20:21], s[0:1]
	s_mov_b64 s[0:1], -1
	s_cbranch_scc0 .LBB14_77
; %bb.5:
	v_lshrrev_b32_e32 v1, 5, v0
	v_cmp_gt_i32_e32 vcc, s24, v1
	s_and_saveexec_b64 s[18:19], vcc
	s_cbranch_execz .LBB14_76
; %bb.6:
	s_lshr_b32 s58, s33, 5
	s_and_b32 s0, s25, 3
	s_cmp_eq_u32 s0, 0
	s_cselect_b64 s[42:43], -1, 0
	s_ashr_i32 s59, s25, 2
	v_bitop3_b32 v36, v0, 31, v0 bitop3:0x3f
	v_add_u32_e32 v4, s59, v36
	v_mad_u64_u32 v[10:11], s[36:37], s20, v1, 0
	v_mov_b32_e32 v5, 0
	v_lshrrev_b32_e32 v6, 5, v4
	v_cmp_lt_u32_e64 s[0:1], 31, v4
	v_mov_b32_e32 v4, v11
	v_mad_u64_u32 v[12:13], s[36:37], s21, v1, v[4:5]
	s_add_u32 s4, s34, s4
	v_mov_b32_e32 v11, v12
	s_addc_u32 s5, s35, s5
	v_lshl_add_u64 v[14:15], v[10:11], 2, s[4:5]
	s_mul_i32 s4, s21, s58
	s_mul_hi_u32 s5, s20, s58
	s_add_i32 s5, s5, s4
	s_mul_i32 s4, s20, s58
	v_lshl_add_u64 v[10:11], s[12:13], 0, v[14:15]
	s_lshl_b64 s[12:13], s[4:5], 2
	s_add_u32 s34, s8, s28
	s_addc_u32 s35, s9, s29
	s_add_u32 s36, s34, 8
	s_addc_u32 s37, s35, 0
	v_lshl_add_u64 v[14:15], s[14:15], 0, v[14:15]
	s_add_u32 s14, s10, s22
	v_add_u32_e32 v9, 1, v6
	s_addc_u32 s15, s11, s23
	v_and_b32_e32 v2, 31, v0
	v_and_b32_e32 v37, 0xffffffe, v9
	s_add_u32 s38, s14, 8
	v_cmp_gt_i32_e32 vcc, s59, v2
	v_mov_b32_e32 v3, v5
	v_or_b32_e32 v7, 32, v2
	v_mov_b32_e32 v6, v2
	v_lshl_or_b32 v8, v37, 5, v2
	v_cmp_ne_u32_e64 s[2:3], v9, v37
	v_mul_lo_u32 v12, s25, v1
	s_mul_i32 s60, s25, s58
	s_addc_u32 s39, s15, 0
	s_mov_b64 s[40:41], 0
	s_xor_b64 s[42:43], s[42:43], -1
	s_mov_b64 s[44:45], 0x200
	s_movk_i32 s61, 0x5f
	s_mov_b64 s[46:47], 0x80
	v_lshlrev_b32_e32 v16, 2, v2
	s_branch .LBB14_9
.LBB14_7:                               ;   in Loop: Header=BB14_9 Depth=1
	s_or_b64 exec, exec, s[50:51]
.LBB14_8:                               ;   in Loop: Header=BB14_9 Depth=1
	s_or_b64 exec, exec, s[48:49]
	v_add_u32_e32 v1, s58, v1
	v_cmp_le_i32_e64 s[4:5], s24, v1
	v_lshl_add_u64 v[10:11], v[10:11], 0, s[12:13]
	v_add_u32_e32 v12, s60, v12
	s_or_b64 s[40:41], s[4:5], s[40:41]
	v_lshl_add_u64 v[14:15], v[14:15], 0, s[12:13]
	s_andn2_b64 exec, exec, s[40:41]
	s_cbranch_execz .LBB14_76
.LBB14_9:                               ; =>This Loop Header: Depth=1
                                        ;     Child Loop BB14_15 Depth 2
                                        ;     Child Loop BB14_21 Depth 2
	;; [unrolled: 1-line block ×12, first 2 shown]
	v_mul_lo_u32 v20, v1, s25
	v_ashrrev_i32_e32 v21, 31, v20
	v_mad_u64_u32 v[22:23], s[4:5], s20, v1, 0
	v_lshl_add_u64 v[28:29], v[20:21], 2, s[30:31]
	v_mov_b32_e32 v4, v23
	v_ashrrev_i32_e32 v13, 31, v12
	v_mad_u64_u32 v[26:27], s[4:5], s21, v1, v[4:5]
	v_and_b32_e32 v4, 15, v28
	v_lshlrev_b64 v[18:19], 2, v[12:13]
	v_mov_b32_e32 v23, v26
	v_cmp_ne_u64_e64 s[4:5], 0, v[4:5]
	v_lshl_add_u64 v[24:25], s[34:35], 0, v[18:19]
	v_lshl_add_u64 v[30:31], v[22:23], 2, s[16:17]
	s_or_b64 s[4:5], s[42:43], s[4:5]
	s_and_saveexec_b64 s[48:49], s[4:5]
	s_xor_b64 s[48:49], exec, s[48:49]
	s_cbranch_execz .LBB14_31
; %bb.10:                               ;   in Loop: Header=BB14_9 Depth=1
	v_sub_u32_e32 v4, 0, v28
	v_bfe_u32 v4, v4, 2, 2
	v_min_i32_e32 v26, s25, v4
	v_cmp_lt_i32_e64 s[4:5], v2, v26
	s_and_saveexec_b64 s[50:51], s[4:5]
	s_cbranch_execz .LBB14_12
; %bb.11:                               ;   in Loop: Header=BB14_9 Depth=1
	v_mov_b32_e32 v17, v5
	v_lshl_add_u64 v[32:33], v[28:29], 0, v[16:17]
	global_load_dword v4, v[32:33], off
	v_lshl_add_u64 v[32:33], v[30:31], 0, v[16:17]
	s_waitcnt vmcnt(0)
	global_store_dword v[32:33], v4, off
.LBB14_12:                              ;   in Loop: Header=BB14_9 Depth=1
	s_or_b64 exec, exec, s[50:51]
	v_sub_u32_e32 v9, s25, v26
	v_ashrrev_i32_e32 v4, 31, v9
	v_lshrrev_b32_e32 v4, 30, v4
	v_ashrrev_i32_e32 v27, 31, v26
	v_add_u32_e32 v4, v9, v4
	v_lshlrev_b64 v[32:33], 2, v[26:27]
	v_ashrrev_i32_e32 v13, 2, v4
	v_lshl_add_u64 v[28:29], v[28:29], 0, v[32:33]
	v_lshl_add_u64 v[30:31], v[30:31], 0, v[32:33]
	v_cmp_lt_i32_e64 s[4:5], v2, v13
	s_and_saveexec_b64 s[50:51], s[4:5]
	s_cbranch_execz .LBB14_22
; %bb.13:                               ;   in Loop: Header=BB14_9 Depth=1
	v_add_u32_e32 v17, v13, v36
	v_cmp_lt_u32_e64 s[4:5], 31, v17
	s_mov_b64 s[54:55], -1
	v_mov_b32_e32 v4, v2
	v_mov_b64_e32 v[34:35], v[2:3]
	s_and_saveexec_b64 s[52:53], s[4:5]
	s_cbranch_execz .LBB14_19
; %bb.14:                               ;   in Loop: Header=BB14_9 Depth=1
	v_lshrrev_b32_e32 v4, 5, v17
	v_add_u32_e32 v38, 1, v4
	v_and_b32_e32 v17, 0xffffffe, v38
	s_mov_b64 s[54:55], 0
	v_mov_b32_e32 v39, v17
	v_mov_b64_e32 v[34:35], v[6:7]
.LBB14_15:                              ;   Parent Loop BB14_9 Depth=1
                                        ; =>  This Inner Loop Header: Depth=2
	v_mov_b32_e32 v4, v34
	v_lshlrev_b64 v[48:49], 4, v[4:5]
	v_mov_b32_e32 v4, v35
	v_lshlrev_b64 v[50:51], 4, v[4:5]
	v_lshl_add_u64 v[40:41], v[28:29], 0, v[48:49]
	v_lshl_add_u64 v[44:45], v[28:29], 0, v[50:51]
	global_load_dwordx4 v[40:43], v[40:41], off
	s_nop 0
	global_load_dwordx4 v[44:47], v[44:45], off
	v_add_u32_e32 v39, -2, v39
	v_cmp_eq_u32_e64 s[4:5], 0, v39
	v_add_u32_e32 v34, 64, v34
	v_add_u32_e32 v35, 64, v35
	v_lshl_add_u64 v[48:49], v[30:31], 0, v[48:49]
	s_or_b64 s[54:55], s[4:5], s[54:55]
	v_lshl_add_u64 v[50:51], v[30:31], 0, v[50:51]
	s_waitcnt vmcnt(1)
	global_store_dwordx4 v[48:49], v[40:43], off
	s_waitcnt vmcnt(1)
	global_store_dwordx4 v[50:51], v[44:47], off
	s_andn2_b64 exec, exec, s[54:55]
	s_cbranch_execnz .LBB14_15
; %bb.16:                               ;   in Loop: Header=BB14_9 Depth=1
	s_or_b64 exec, exec, s[54:55]
	v_cmp_ne_u32_e64 s[4:5], v38, v17
	s_mov_b64 s[54:55], 0
                                        ; implicit-def: $vgpr34_vgpr35
	s_and_saveexec_b64 s[56:57], s[4:5]
; %bb.17:                               ;   in Loop: Header=BB14_9 Depth=1
	v_lshl_or_b32 v4, v17, 5, v2
	s_mov_b64 s[54:55], exec
	v_mov_b64_e32 v[34:35], v[4:5]
; %bb.18:                               ;   in Loop: Header=BB14_9 Depth=1
	s_or_b64 exec, exec, s[56:57]
	s_orn2_b64 s[54:55], s[54:55], exec
.LBB14_19:                              ;   in Loop: Header=BB14_9 Depth=1
	s_or_b64 exec, exec, s[52:53]
	s_and_b64 exec, exec, s[54:55]
	s_cbranch_execz .LBB14_22
; %bb.20:                               ;   in Loop: Header=BB14_9 Depth=1
	v_lshl_add_u64 v[34:35], v[34:35], 4, v[32:33]
	v_lshl_add_u64 v[32:33], v[10:11], 0, v[34:35]
	;; [unrolled: 1-line block ×4, first 2 shown]
	s_mov_b64 s[52:53], 0
.LBB14_21:                              ;   Parent Loop BB14_9 Depth=1
                                        ; =>  This Inner Loop Header: Depth=2
	global_load_dwordx4 v[38:41], v[34:35], off offset:-8
	v_add_u32_e32 v4, 32, v4
	v_cmp_ge_i32_e64 s[4:5], v4, v13
	v_lshl_add_u64 v[34:35], v[34:35], 0, s[44:45]
	s_or_b64 s[52:53], s[4:5], s[52:53]
	s_waitcnt vmcnt(0)
	global_store_dwordx4 v[32:33], v[38:41], off
	v_lshl_add_u64 v[32:33], v[32:33], 0, s[44:45]
	s_andn2_b64 exec, exec, s[52:53]
	s_cbranch_execnz .LBB14_21
.LBB14_22:                              ;   in Loop: Header=BB14_9 Depth=1
	s_or_b64 exec, exec, s[50:51]
	v_lshlrev_b32_e32 v4, 2, v13
	v_add_u32_e32 v32, v4, v2
	v_cmp_lt_i32_e64 s[4:5], v32, v9
	s_and_saveexec_b64 s[50:51], s[4:5]
	s_cbranch_execz .LBB14_30
; %bb.23:                               ;   in Loop: Header=BB14_9 Depth=1
	v_add_u32_e32 v13, v7, v4
	v_max_i32_e32 v13, v13, v9
	v_add_u32_e32 v13, v13, v36
	v_sub_u32_e32 v4, v13, v4
	v_cmp_lt_u32_e64 s[4:5], s61, v4
	s_mov_b64 s[54:55], -1
	s_and_saveexec_b64 s[52:53], s[4:5]
	s_cbranch_execz .LBB14_27
; %bb.24:                               ;   in Loop: Header=BB14_9 Depth=1
	v_lshrrev_b32_e32 v4, 5, v4
	v_add_u32_e32 v4, 1, v4
	v_and_b32_e32 v13, 0xffffffc, v4
	v_add_u32_e32 v33, 32, v32
	s_mov_b64 s[54:55], 0
	v_mov_b32_e32 v17, v13
	v_mov_b64_e32 v[34:35], v[32:33]
.LBB14_25:                              ;   Parent Loop BB14_9 Depth=1
                                        ; =>  This Inner Loop Header: Depth=2
	v_add_u32_e32 v38, 64, v34
	v_add_u32_e32 v40, 64, v35
	v_ashrrev_i32_e32 v43, 31, v35
	v_mov_b32_e32 v42, v35
	v_ashrrev_i32_e32 v45, 31, v34
	v_mov_b32_e32 v44, v34
	v_ashrrev_i32_e32 v41, 31, v40
	v_ashrrev_i32_e32 v39, 31, v38
	v_lshlrev_b64 v[44:45], 2, v[44:45]
	v_lshlrev_b64 v[42:43], 2, v[42:43]
	;; [unrolled: 1-line block ×4, first 2 shown]
	v_lshl_add_u64 v[46:47], v[28:29], 0, v[44:45]
	v_lshl_add_u64 v[48:49], v[28:29], 0, v[42:43]
	;; [unrolled: 1-line block ×4, first 2 shown]
	global_load_dword v33, v[46:47], off
	s_nop 0
	global_load_dword v46, v[48:49], off
	global_load_dword v47, v[50:51], off
	s_nop 0
	global_load_dword v48, v[52:53], off
	v_add_u32_e32 v17, -4, v17
	v_cmp_eq_u32_e64 s[4:5], 0, v17
	v_add_u32_e32 v35, 0x80, v35
	v_add_u32_e32 v34, 0x80, v34
	v_lshl_add_u64 v[44:45], v[30:31], 0, v[44:45]
	s_or_b64 s[54:55], s[4:5], s[54:55]
	v_lshl_add_u64 v[42:43], v[30:31], 0, v[42:43]
	v_lshl_add_u64 v[38:39], v[30:31], 0, v[38:39]
	;; [unrolled: 1-line block ×3, first 2 shown]
	s_waitcnt vmcnt(3)
	global_store_dword v[44:45], v33, off
	s_waitcnt vmcnt(3)
	global_store_dword v[42:43], v46, off
	;; [unrolled: 2-line block ×4, first 2 shown]
	s_andn2_b64 exec, exec, s[54:55]
	s_cbranch_execnz .LBB14_25
; %bb.26:                               ;   in Loop: Header=BB14_9 Depth=1
	s_or_b64 exec, exec, s[54:55]
	v_cmp_ne_u32_e64 s[4:5], v4, v13
	v_lshl_add_u32 v32, v13, 5, v32
	s_orn2_b64 s[54:55], s[4:5], exec
.LBB14_27:                              ;   in Loop: Header=BB14_9 Depth=1
	s_or_b64 exec, exec, s[52:53]
	s_and_b64 exec, exec, s[54:55]
	s_cbranch_execz .LBB14_30
; %bb.28:                               ;   in Loop: Header=BB14_9 Depth=1
	v_ashrrev_i32_e32 v33, 31, v32
	v_lshlrev_b64 v[28:29], 2, v[32:33]
	v_lshl_add_u64 v[26:27], v[26:27], 2, v[28:29]
	s_mov_b64 s[52:53], 0
.LBB14_29:                              ;   Parent Loop BB14_9 Depth=1
                                        ; =>  This Inner Loop Header: Depth=2
	v_lshl_add_u64 v[28:29], v[24:25], 0, v[26:27]
	global_load_dword v4, v[28:29], off
	v_add_u32_e32 v32, 32, v32
	v_cmp_ge_i32_e64 s[4:5], v32, v9
	v_lshl_add_u64 v[28:29], v[10:11], 0, v[26:27]
	v_lshl_add_u64 v[26:27], v[26:27], 0, s[46:47]
	s_or_b64 s[52:53], s[4:5], s[52:53]
	s_waitcnt vmcnt(0)
	global_store_dword v[28:29], v4, off
	s_andn2_b64 exec, exec, s[52:53]
	s_cbranch_execnz .LBB14_29
.LBB14_30:                              ;   in Loop: Header=BB14_9 Depth=1
	s_or_b64 exec, exec, s[50:51]
                                        ; implicit-def: $vgpr24_vgpr25
                                        ; implicit-def: $vgpr28_vgpr29
                                        ; implicit-def: $vgpr30_vgpr31
.LBB14_31:                              ;   in Loop: Header=BB14_9 Depth=1
	s_andn2_saveexec_b64 s[48:49], s[48:49]
	s_cbranch_execz .LBB14_43
; %bb.32:                               ;   in Loop: Header=BB14_9 Depth=1
	s_and_saveexec_b64 s[50:51], vcc
	s_cbranch_execz .LBB14_42
; %bb.33:                               ;   in Loop: Header=BB14_9 Depth=1
	s_mov_b64 s[4:5], -1
	v_mov_b32_e32 v4, v2
	v_mov_b64_e32 v[26:27], v[2:3]
	s_and_saveexec_b64 s[52:53], s[0:1]
	s_cbranch_execz .LBB14_39
; %bb.34:                               ;   in Loop: Header=BB14_9 Depth=1
	s_mov_b64 s[54:55], 0
	v_mov_b32_e32 v9, v37
	v_mov_b64_e32 v[26:27], v[6:7]
.LBB14_35:                              ;   Parent Loop BB14_9 Depth=1
                                        ; =>  This Inner Loop Header: Depth=2
	v_mov_b32_e32 v4, v26
	v_lshlrev_b64 v[42:43], 4, v[4:5]
	v_mov_b32_e32 v4, v27
	v_lshlrev_b64 v[44:45], 4, v[4:5]
	v_lshl_add_u64 v[32:33], v[28:29], 0, v[42:43]
	v_lshl_add_u64 v[38:39], v[28:29], 0, v[44:45]
	global_load_dwordx4 v[32:35], v[32:33], off
	s_nop 0
	global_load_dwordx4 v[38:41], v[38:39], off
	v_add_u32_e32 v9, -2, v9
	v_cmp_eq_u32_e64 s[4:5], 0, v9
	v_add_u32_e32 v26, 64, v26
	v_add_u32_e32 v27, 64, v27
	v_lshl_add_u64 v[42:43], v[30:31], 0, v[42:43]
	s_or_b64 s[54:55], s[4:5], s[54:55]
	v_lshl_add_u64 v[44:45], v[30:31], 0, v[44:45]
	s_waitcnt vmcnt(1)
	global_store_dwordx4 v[42:43], v[32:35], off
	s_waitcnt vmcnt(1)
	global_store_dwordx4 v[44:45], v[38:41], off
	s_andn2_b64 exec, exec, s[54:55]
	s_cbranch_execnz .LBB14_35
; %bb.36:                               ;   in Loop: Header=BB14_9 Depth=1
	s_or_b64 exec, exec, s[54:55]
	s_mov_b64 s[4:5], 0
                                        ; implicit-def: $vgpr26_vgpr27
	s_and_saveexec_b64 s[54:55], s[2:3]
; %bb.37:                               ;   in Loop: Header=BB14_9 Depth=1
	v_mov_b32_e32 v9, v5
	s_mov_b64 s[4:5], exec
	v_mov_b64_e32 v[26:27], v[8:9]
; %bb.38:                               ;   in Loop: Header=BB14_9 Depth=1
	s_or_b64 exec, exec, s[54:55]
	s_orn2_b64 s[4:5], s[4:5], exec
	v_mov_b32_e32 v4, v8
.LBB14_39:                              ;   in Loop: Header=BB14_9 Depth=1
	s_or_b64 exec, exec, s[52:53]
	s_and_b64 exec, exec, s[4:5]
	s_cbranch_execz .LBB14_42
; %bb.40:                               ;   in Loop: Header=BB14_9 Depth=1
	v_lshlrev_b64 v[26:27], 4, v[26:27]
	s_mov_b64 s[52:53], 0
.LBB14_41:                              ;   Parent Loop BB14_9 Depth=1
                                        ; =>  This Inner Loop Header: Depth=2
	v_lshl_add_u64 v[28:29], v[24:25], 0, v[26:27]
	global_load_dwordx4 v[28:31], v[28:29], off
	v_add_u32_e32 v4, 32, v4
	v_cmp_le_i32_e64 s[4:5], s59, v4
	v_lshl_add_u64 v[32:33], v[10:11], 0, v[26:27]
	v_lshl_add_u64 v[26:27], v[26:27], 0, s[44:45]
	s_or_b64 s[52:53], s[4:5], s[52:53]
	s_waitcnt vmcnt(0)
	global_store_dwordx4 v[32:33], v[28:31], off
	s_andn2_b64 exec, exec, s[52:53]
	s_cbranch_execnz .LBB14_41
.LBB14_42:                              ;   in Loop: Header=BB14_9 Depth=1
	s_or_b64 exec, exec, s[50:51]
.LBB14_43:                              ;   in Loop: Header=BB14_9 Depth=1
	s_or_b64 exec, exec, s[48:49]
	v_lshl_add_u64 v[26:27], v[20:21], 2, s[26:27]
	v_and_b32_e32 v4, 15, v26
	v_cmp_ne_u64_e64 s[4:5], 0, v[4:5]
	v_lshl_add_u64 v[24:25], s[14:15], 0, v[18:19]
	v_lshl_add_u64 v[30:31], v[22:23], 2, s[6:7]
	s_or_b64 s[4:5], s[42:43], s[4:5]
	s_and_saveexec_b64 s[48:49], s[4:5]
	s_xor_b64 s[48:49], exec, s[48:49]
	s_cbranch_execz .LBB14_65
; %bb.44:                               ;   in Loop: Header=BB14_9 Depth=1
	v_sub_u32_e32 v4, 0, v26
	v_bfe_u32 v4, v4, 2, 2
	v_min_i32_e32 v20, s25, v4
	v_cmp_lt_i32_e64 s[4:5], v2, v20
	s_and_saveexec_b64 s[50:51], s[4:5]
	s_cbranch_execz .LBB14_46
; %bb.45:                               ;   in Loop: Header=BB14_9 Depth=1
	v_mov_b32_e32 v17, v5
	v_lshl_add_u64 v[22:23], v[26:27], 0, v[16:17]
	global_load_dword v4, v[22:23], off
	v_lshl_add_u64 v[22:23], v[30:31], 0, v[16:17]
	s_waitcnt vmcnt(0)
	global_store_dword v[22:23], v4, off
.LBB14_46:                              ;   in Loop: Header=BB14_9 Depth=1
	s_or_b64 exec, exec, s[50:51]
	v_sub_u32_e32 v9, s25, v20
	v_ashrrev_i32_e32 v4, 31, v9
	v_lshrrev_b32_e32 v4, 30, v4
	v_ashrrev_i32_e32 v21, 31, v20
	v_add_u32_e32 v4, v9, v4
	v_lshlrev_b64 v[28:29], 2, v[20:21]
	v_ashrrev_i32_e32 v13, 2, v4
	v_lshl_add_u64 v[22:23], v[26:27], 0, v[28:29]
	v_lshl_add_u64 v[26:27], v[30:31], 0, v[28:29]
	v_cmp_lt_i32_e64 s[4:5], v2, v13
	s_and_saveexec_b64 s[50:51], s[4:5]
	s_cbranch_execz .LBB14_56
; %bb.47:                               ;   in Loop: Header=BB14_9 Depth=1
	v_add_u32_e32 v17, v13, v36
	v_cmp_lt_u32_e64 s[4:5], 31, v17
	s_mov_b64 s[54:55], -1
	v_mov_b32_e32 v4, v2
	v_mov_b64_e32 v[30:31], v[2:3]
	s_and_saveexec_b64 s[52:53], s[4:5]
	s_cbranch_execz .LBB14_53
; %bb.48:                               ;   in Loop: Header=BB14_9 Depth=1
	v_lshrrev_b32_e32 v4, 5, v17
	v_add_u32_e32 v32, 1, v4
	v_and_b32_e32 v17, 0xffffffe, v32
	s_mov_b64 s[54:55], 0
	v_mov_b32_e32 v33, v17
	v_mov_b64_e32 v[30:31], v[6:7]
.LBB14_49:                              ;   Parent Loop BB14_9 Depth=1
                                        ; =>  This Inner Loop Header: Depth=2
	v_mov_b32_e32 v4, v30
	v_lshlrev_b64 v[34:35], 4, v[4:5]
	v_mov_b32_e32 v4, v31
	v_lshlrev_b64 v[46:47], 4, v[4:5]
	v_lshl_add_u64 v[38:39], v[22:23], 0, v[34:35]
	v_lshl_add_u64 v[42:43], v[22:23], 0, v[46:47]
	global_load_dwordx4 v[38:41], v[38:39], off
	s_nop 0
	global_load_dwordx4 v[42:45], v[42:43], off
	v_add_u32_e32 v33, -2, v33
	v_cmp_eq_u32_e64 s[4:5], 0, v33
	v_add_u32_e32 v30, 64, v30
	v_add_u32_e32 v31, 64, v31
	v_lshl_add_u64 v[34:35], v[26:27], 0, v[34:35]
	s_or_b64 s[54:55], s[4:5], s[54:55]
	v_lshl_add_u64 v[46:47], v[26:27], 0, v[46:47]
	s_waitcnt vmcnt(1)
	global_store_dwordx4 v[34:35], v[38:41], off
	s_waitcnt vmcnt(1)
	global_store_dwordx4 v[46:47], v[42:45], off
	s_andn2_b64 exec, exec, s[54:55]
	s_cbranch_execnz .LBB14_49
; %bb.50:                               ;   in Loop: Header=BB14_9 Depth=1
	s_or_b64 exec, exec, s[54:55]
	v_cmp_ne_u32_e64 s[4:5], v32, v17
	s_mov_b64 s[54:55], 0
                                        ; implicit-def: $vgpr30_vgpr31
	s_and_saveexec_b64 s[56:57], s[4:5]
; %bb.51:                               ;   in Loop: Header=BB14_9 Depth=1
	v_lshl_or_b32 v4, v17, 5, v2
	s_mov_b64 s[54:55], exec
	v_mov_b64_e32 v[30:31], v[4:5]
; %bb.52:                               ;   in Loop: Header=BB14_9 Depth=1
	s_or_b64 exec, exec, s[56:57]
	s_orn2_b64 s[54:55], s[54:55], exec
.LBB14_53:                              ;   in Loop: Header=BB14_9 Depth=1
	s_or_b64 exec, exec, s[52:53]
	s_and_b64 exec, exec, s[54:55]
	s_cbranch_execz .LBB14_56
; %bb.54:                               ;   in Loop: Header=BB14_9 Depth=1
	v_lshl_add_u64 v[30:31], v[30:31], 4, v[28:29]
	v_lshl_add_u64 v[18:19], v[30:31], 0, v[18:19]
	;; [unrolled: 1-line block ×4, first 2 shown]
	s_mov_b64 s[52:53], 0
.LBB14_55:                              ;   Parent Loop BB14_9 Depth=1
                                        ; =>  This Inner Loop Header: Depth=2
	global_load_dwordx4 v[30:33], v[18:19], off offset:-8
	v_add_u32_e32 v4, 32, v4
	v_cmp_ge_i32_e64 s[4:5], v4, v13
	v_lshl_add_u64 v[18:19], v[18:19], 0, s[44:45]
	s_or_b64 s[52:53], s[4:5], s[52:53]
	s_waitcnt vmcnt(0)
	global_store_dwordx4 v[28:29], v[30:33], off
	v_lshl_add_u64 v[28:29], v[28:29], 0, s[44:45]
	s_andn2_b64 exec, exec, s[52:53]
	s_cbranch_execnz .LBB14_55
.LBB14_56:                              ;   in Loop: Header=BB14_9 Depth=1
	s_or_b64 exec, exec, s[50:51]
	v_lshlrev_b32_e32 v4, 2, v13
	v_add_u32_e32 v18, v4, v2
	v_cmp_lt_i32_e64 s[4:5], v18, v9
	s_and_saveexec_b64 s[50:51], s[4:5]
	s_cbranch_execz .LBB14_64
; %bb.57:                               ;   in Loop: Header=BB14_9 Depth=1
	v_add_u32_e32 v13, v7, v4
	v_max_i32_e32 v13, v13, v9
	v_add_u32_e32 v13, v13, v36
	v_sub_u32_e32 v4, v13, v4
	v_cmp_lt_u32_e64 s[4:5], s61, v4
	s_mov_b64 s[54:55], -1
	s_and_saveexec_b64 s[52:53], s[4:5]
	s_cbranch_execz .LBB14_61
; %bb.58:                               ;   in Loop: Header=BB14_9 Depth=1
	v_lshrrev_b32_e32 v4, 5, v4
	v_add_u32_e32 v4, 1, v4
	v_and_b32_e32 v13, 0xffffffc, v4
	v_add_u32_e32 v19, 32, v18
	s_mov_b64 s[54:55], 0
	v_mov_b32_e32 v17, v13
	v_mov_b64_e32 v[28:29], v[18:19]
.LBB14_59:                              ;   Parent Loop BB14_9 Depth=1
                                        ; =>  This Inner Loop Header: Depth=2
	v_add_u32_e32 v30, 64, v28
	v_add_u32_e32 v32, 64, v29
	v_ashrrev_i32_e32 v35, 31, v29
	v_mov_b32_e32 v34, v29
	v_ashrrev_i32_e32 v39, 31, v28
	v_mov_b32_e32 v38, v28
	v_ashrrev_i32_e32 v33, 31, v32
	v_ashrrev_i32_e32 v31, 31, v30
	v_lshlrev_b64 v[38:39], 2, v[38:39]
	v_lshlrev_b64 v[34:35], 2, v[34:35]
	;; [unrolled: 1-line block ×4, first 2 shown]
	v_lshl_add_u64 v[40:41], v[22:23], 0, v[38:39]
	v_lshl_add_u64 v[42:43], v[22:23], 0, v[34:35]
	;; [unrolled: 1-line block ×4, first 2 shown]
	global_load_dword v19, v[40:41], off
	s_nop 0
	global_load_dword v40, v[42:43], off
	global_load_dword v41, v[44:45], off
	s_nop 0
	global_load_dword v42, v[46:47], off
	v_add_u32_e32 v17, -4, v17
	v_cmp_eq_u32_e64 s[4:5], 0, v17
	v_add_u32_e32 v29, 0x80, v29
	v_add_u32_e32 v28, 0x80, v28
	v_lshl_add_u64 v[38:39], v[26:27], 0, v[38:39]
	s_or_b64 s[54:55], s[4:5], s[54:55]
	v_lshl_add_u64 v[34:35], v[26:27], 0, v[34:35]
	v_lshl_add_u64 v[30:31], v[26:27], 0, v[30:31]
	;; [unrolled: 1-line block ×3, first 2 shown]
	s_waitcnt vmcnt(3)
	global_store_dword v[38:39], v19, off
	s_waitcnt vmcnt(3)
	global_store_dword v[34:35], v40, off
	;; [unrolled: 2-line block ×4, first 2 shown]
	s_andn2_b64 exec, exec, s[54:55]
	s_cbranch_execnz .LBB14_59
; %bb.60:                               ;   in Loop: Header=BB14_9 Depth=1
	s_or_b64 exec, exec, s[54:55]
	v_cmp_ne_u32_e64 s[4:5], v4, v13
	v_lshl_add_u32 v18, v13, 5, v18
	s_orn2_b64 s[54:55], s[4:5], exec
.LBB14_61:                              ;   in Loop: Header=BB14_9 Depth=1
	s_or_b64 exec, exec, s[52:53]
	s_and_b64 exec, exec, s[54:55]
	s_cbranch_execz .LBB14_64
; %bb.62:                               ;   in Loop: Header=BB14_9 Depth=1
	v_ashrrev_i32_e32 v19, 31, v18
	v_lshlrev_b64 v[22:23], 2, v[18:19]
	v_lshl_add_u64 v[20:21], v[20:21], 2, v[22:23]
	s_mov_b64 s[52:53], 0
.LBB14_63:                              ;   Parent Loop BB14_9 Depth=1
                                        ; =>  This Inner Loop Header: Depth=2
	v_lshl_add_u64 v[22:23], v[24:25], 0, v[20:21]
	global_load_dword v4, v[22:23], off
	v_add_u32_e32 v18, 32, v18
	v_cmp_ge_i32_e64 s[4:5], v18, v9
	v_lshl_add_u64 v[22:23], v[14:15], 0, v[20:21]
	v_lshl_add_u64 v[20:21], v[20:21], 0, s[46:47]
	s_or_b64 s[52:53], s[4:5], s[52:53]
	s_waitcnt vmcnt(0)
	global_store_dword v[22:23], v4, off
	s_andn2_b64 exec, exec, s[52:53]
	s_cbranch_execnz .LBB14_63
.LBB14_64:                              ;   in Loop: Header=BB14_9 Depth=1
	s_or_b64 exec, exec, s[50:51]
                                        ; implicit-def: $vgpr24_vgpr25
                                        ; implicit-def: $vgpr26_vgpr27
                                        ; implicit-def: $vgpr30_vgpr31
.LBB14_65:                              ;   in Loop: Header=BB14_9 Depth=1
	s_andn2_saveexec_b64 s[48:49], s[48:49]
	s_cbranch_execz .LBB14_8
; %bb.66:                               ;   in Loop: Header=BB14_9 Depth=1
	s_and_saveexec_b64 s[50:51], vcc
	s_cbranch_execz .LBB14_7
; %bb.67:                               ;   in Loop: Header=BB14_9 Depth=1
	s_mov_b64 s[4:5], -1
	v_mov_b32_e32 v4, v2
	v_mov_b64_e32 v[18:19], v[2:3]
	s_and_saveexec_b64 s[52:53], s[0:1]
	s_cbranch_execz .LBB14_73
; %bb.68:                               ;   in Loop: Header=BB14_9 Depth=1
	s_mov_b64 s[54:55], 0
	v_mov_b32_e32 v9, v37
	v_mov_b64_e32 v[18:19], v[6:7]
.LBB14_69:                              ;   Parent Loop BB14_9 Depth=1
                                        ; =>  This Inner Loop Header: Depth=2
	v_mov_b32_e32 v4, v18
	v_lshlrev_b64 v[28:29], 4, v[4:5]
	v_mov_b32_e32 v4, v19
	v_lshlrev_b64 v[38:39], 4, v[4:5]
	v_lshl_add_u64 v[20:21], v[26:27], 0, v[28:29]
	v_lshl_add_u64 v[32:33], v[26:27], 0, v[38:39]
	global_load_dwordx4 v[20:23], v[20:21], off
	s_nop 0
	global_load_dwordx4 v[32:35], v[32:33], off
	v_add_u32_e32 v9, -2, v9
	v_cmp_eq_u32_e64 s[4:5], 0, v9
	v_add_u32_e32 v18, 64, v18
	v_add_u32_e32 v19, 64, v19
	v_lshl_add_u64 v[28:29], v[30:31], 0, v[28:29]
	s_or_b64 s[54:55], s[4:5], s[54:55]
	v_lshl_add_u64 v[38:39], v[30:31], 0, v[38:39]
	s_waitcnt vmcnt(1)
	global_store_dwordx4 v[28:29], v[20:23], off
	s_waitcnt vmcnt(1)
	global_store_dwordx4 v[38:39], v[32:35], off
	s_andn2_b64 exec, exec, s[54:55]
	s_cbranch_execnz .LBB14_69
; %bb.70:                               ;   in Loop: Header=BB14_9 Depth=1
	s_or_b64 exec, exec, s[54:55]
	s_mov_b64 s[4:5], 0
                                        ; implicit-def: $vgpr18_vgpr19
	s_and_saveexec_b64 s[54:55], s[2:3]
; %bb.71:                               ;   in Loop: Header=BB14_9 Depth=1
	v_mov_b32_e32 v9, v5
	s_mov_b64 s[4:5], exec
	v_mov_b64_e32 v[18:19], v[8:9]
; %bb.72:                               ;   in Loop: Header=BB14_9 Depth=1
	s_or_b64 exec, exec, s[54:55]
	s_orn2_b64 s[4:5], s[4:5], exec
	v_mov_b32_e32 v4, v8
.LBB14_73:                              ;   in Loop: Header=BB14_9 Depth=1
	s_or_b64 exec, exec, s[52:53]
	s_and_b64 exec, exec, s[4:5]
	s_cbranch_execz .LBB14_7
; %bb.74:                               ;   in Loop: Header=BB14_9 Depth=1
	v_lshlrev_b64 v[18:19], 4, v[18:19]
	s_mov_b64 s[52:53], 0
.LBB14_75:                              ;   Parent Loop BB14_9 Depth=1
                                        ; =>  This Inner Loop Header: Depth=2
	v_lshl_add_u64 v[20:21], v[24:25], 0, v[18:19]
	global_load_dwordx4 v[20:23], v[20:21], off
	v_add_u32_e32 v4, 32, v4
	v_cmp_le_i32_e64 s[4:5], s59, v4
	v_lshl_add_u64 v[26:27], v[14:15], 0, v[18:19]
	v_lshl_add_u64 v[18:19], v[18:19], 0, s[44:45]
	s_or_b64 s[52:53], s[4:5], s[52:53]
	s_waitcnt vmcnt(0)
	global_store_dwordx4 v[26:27], v[20:23], off
	s_andn2_b64 exec, exec, s[52:53]
	s_cbranch_execnz .LBB14_75
	s_branch .LBB14_7
.LBB14_76:
	s_or_b64 exec, exec, s[18:19]
	s_mov_b64 s[0:1], 0
.LBB14_77:
	s_andn2_b64 vcc, exec, s[0:1]
	s_cbranch_vccnz .LBB14_139
; %bb.78:
	s_and_b32 s0, s30, 15
	s_mov_b32 s1, 0
	s_mul_i32 s34, s25, s24
	s_cmp_lg_u64 s[0:1], 0
	s_cselect_b64 s[2:3], -1, 0
	s_and_b32 s4, s34, 3
	s_cmp_eq_u32 s4, 0
	s_cselect_b64 s[0:1], -1, 0
	s_cmp_lg_u32 s4, 0
	s_cselect_b64 s[4:5], -1, 0
	s_or_b64 s[4:5], s[2:3], s[4:5]
	s_mov_b64 s[2:3], -1
	s_and_b64 vcc, exec, s[4:5]
	s_cbranch_vccz .LBB14_99
; %bb.79:
	s_sub_i32 s2, 0, s30
	s_bfe_u32 s2, s2, 0x20002
	s_min_i32 s2, s2, s34
	v_cmp_gt_i32_e32 vcc, s2, v0
	s_and_saveexec_b64 s[4:5], vcc
	s_cbranch_execz .LBB14_82
; %bb.80:
	v_lshlrev_b32_e32 v2, 2, v0
	s_mov_b32 s13, 0
	v_mov_b32_e32 v3, 0
	s_lshl_b32 s12, s33, 2
	s_mov_b64 s[14:15], 0
	v_mov_b32_e32 v1, v0
.LBB14_81:                              ; =>This Inner Loop Header: Depth=1
	v_lshl_add_u64 v[4:5], s[30:31], 0, v[2:3]
	global_load_dword v6, v[4:5], off
	v_add_u32_e32 v1, s33, v1
	v_cmp_le_i32_e32 vcc, s2, v1
	v_lshl_add_u64 v[4:5], s[16:17], 0, v[2:3]
	v_lshl_add_u64 v[2:3], v[2:3], 0, s[12:13]
	s_or_b64 s[14:15], vcc, s[14:15]
	s_waitcnt vmcnt(0)
	global_store_dword v[4:5], v6, off
	s_andn2_b64 exec, exec, s[14:15]
	s_cbranch_execnz .LBB14_81
.LBB14_82:
	s_or_b64 exec, exec, s[4:5]
	s_ashr_i32 s3, s2, 31
	s_lshl_b64 s[18:19], s[2:3], 2
	s_add_u32 s4, s30, s18
	s_addc_u32 s5, s31, s19
	s_add_u32 s12, s16, s18
	s_addc_u32 s13, s17, s19
	s_sub_i32 s35, s34, s2
	s_ashr_i32 s14, s35, 31
	s_lshr_b32 s14, s14, 30
	s_add_i32 s14, s35, s14
	s_ashr_i32 s36, s14, 2
	v_cmp_gt_i32_e32 vcc, s36, v0
	s_and_saveexec_b64 s[14:15], vcc
	s_cbranch_execz .LBB14_90
; %bb.83:
	v_add_u32_e32 v1, 1, v0
	v_max_i32_e32 v2, s36, v1
	s_and_b32 s20, s33, 0xffff
	v_sub_u32_e32 v6, v2, v0
	s_cmp_eq_u32 s20, 1
	v_cmp_lt_u32_e32 vcc, 1, v6
	s_cselect_b64 s[20:21], -1, 0
	s_and_b64 s[38:39], vcc, s[20:21]
	s_mov_b64 s[24:25], -1
	v_mov_b32_e32 v2, v0
	s_and_saveexec_b64 s[20:21], s[38:39]
	s_cbranch_execz .LBB14_87
; %bb.84:
	v_and_b32_e32 v7, -2, v6
	s_mov_b64 s[24:25], 0
	v_mov_b32_e32 v3, 0
	v_mov_b32_e32 v8, v7
	v_mov_b64_e32 v[4:5], v[0:1]
.LBB14_85:                              ; =>This Inner Loop Header: Depth=1
	v_mov_b32_e32 v2, v4
	v_lshlrev_b64 v[18:19], 4, v[2:3]
	v_mov_b32_e32 v2, v5
	v_lshl_add_u64 v[20:21], s[4:5], 0, v[18:19]
	v_lshlrev_b64 v[22:23], 4, v[2:3]
	v_lshl_add_u64 v[24:25], s[4:5], 0, v[22:23]
	global_load_dwordx4 v[10:13], v[20:21], off
	global_load_dwordx4 v[14:17], v[24:25], off
	v_add_u32_e32 v8, -2, v8
	v_cmp_eq_u32_e32 vcc, 0, v8
	v_add_u32_e32 v4, 2, v4
	v_add_u32_e32 v5, 2, v5
	v_lshl_add_u64 v[18:19], s[12:13], 0, v[18:19]
	s_or_b64 s[24:25], vcc, s[24:25]
	v_lshl_add_u64 v[20:21], s[12:13], 0, v[22:23]
	s_waitcnt vmcnt(1)
	global_store_dwordx4 v[18:19], v[10:13], off
	s_waitcnt vmcnt(1)
	global_store_dwordx4 v[20:21], v[14:17], off
	s_andn2_b64 exec, exec, s[24:25]
	s_cbranch_execnz .LBB14_85
; %bb.86:
	s_or_b64 exec, exec, s[24:25]
	v_cmp_ne_u32_e32 vcc, v6, v7
	v_add_u32_e32 v2, v0, v7
	s_orn2_b64 s[24:25], vcc, exec
.LBB14_87:
	s_or_b64 exec, exec, s[20:21]
	s_and_b64 exec, exec, s[24:25]
	s_cbranch_execz .LBB14_90
; %bb.88:
	v_mov_b32_e32 v3, 0
	s_lshl_b32 s20, s33, 4
	v_lshl_add_u64 v[4:5], v[2:3], 4, s[18:19]
	s_add_u32 s18, s8, s28
	s_addc_u32 s19, s9, s29
	s_add_u32 s18, s18, 8
	s_mov_b32 s21, 0
	s_addc_u32 s19, s19, 0
	s_mov_b64 s[24:25], 0
.LBB14_89:                              ; =>This Inner Loop Header: Depth=1
	v_lshl_add_u64 v[6:7], s[18:19], 0, v[4:5]
	global_load_dwordx4 v[6:9], v[6:7], off offset:-8
	v_add_u32_e32 v2, s33, v2
	v_cmp_le_i32_e32 vcc, s36, v2
	v_lshl_add_u64 v[10:11], s[16:17], 0, v[4:5]
	v_lshl_add_u64 v[4:5], v[4:5], 0, s[20:21]
	s_or_b64 s[24:25], vcc, s[24:25]
	s_waitcnt vmcnt(0)
	global_store_dwordx4 v[10:11], v[6:9], off
	s_andn2_b64 exec, exec, s[24:25]
	s_cbranch_execnz .LBB14_89
.LBB14_90:
	s_or_b64 exec, exec, s[14:15]
	v_lshl_add_u32 v2, s36, 2, v0
	v_cmp_gt_i32_e32 vcc, s35, v2
	s_and_saveexec_b64 s[14:15], vcc
	s_cbranch_execz .LBB14_98
; %bb.91:
	v_add_u32_e32 v1, 1, v2
	v_max_i32_e32 v1, s35, v1
	s_and_b32 s18, s33, 0xffff
	v_sub_u32_e32 v1, v1, v2
	s_cmp_eq_u32 s18, 1
	v_cmp_lt_u32_e32 vcc, 3, v1
	s_cselect_b64 s[18:19], -1, 0
	s_and_b64 s[24:25], vcc, s[18:19]
	s_mov_b64 s[20:21], -1
	s_and_saveexec_b64 s[18:19], s[24:25]
	s_cbranch_execz .LBB14_95
; %bb.92:
	v_and_b32_e32 v3, -4, v1
	s_mov_b64 s[20:21], 0
	v_mov_b32_e32 v4, v2
	v_mov_b32_e32 v6, v3
.LBB14_93:                              ; =>This Inner Loop Header: Depth=1
	v_ashrrev_i32_e32 v5, 31, v4
	v_lshlrev_b64 v[12:13], 2, v[4:5]
	v_lshl_add_u64 v[8:9], s[4:5], 0, v[12:13]
	global_load_dwordx4 v[8:11], v[8:9], off
	v_add_u32_e32 v6, -4, v6
	v_cmp_eq_u32_e32 vcc, 0, v6
	v_lshl_add_u64 v[12:13], s[12:13], 0, v[12:13]
	s_or_b64 s[20:21], vcc, s[20:21]
	v_add_u32_e32 v4, 4, v4
	s_waitcnt vmcnt(0)
	global_store_dwordx4 v[12:13], v[8:11], off
	s_andn2_b64 exec, exec, s[20:21]
	s_cbranch_execnz .LBB14_93
; %bb.94:
	s_or_b64 exec, exec, s[20:21]
	v_cmp_ne_u32_e32 vcc, v1, v3
	v_add_u32_e32 v2, v2, v3
	s_orn2_b64 s[20:21], vcc, exec
.LBB14_95:
	s_or_b64 exec, exec, s[18:19]
	s_and_b64 exec, exec, s[20:21]
	s_cbranch_execz .LBB14_98
; %bb.96:
	v_ashrrev_i32_e32 v3, 31, v2
	v_lshlrev_b64 v[4:5], 2, v[2:3]
	v_lshl_add_u64 v[4:5], s[2:3], 2, v[4:5]
	s_lshl_b32 s2, s33, 2
	s_mov_b32 s3, 0
	s_mov_b64 s[4:5], 0
.LBB14_97:                              ; =>This Inner Loop Header: Depth=1
	v_lshl_add_u64 v[6:7], s[30:31], 0, v[4:5]
	global_load_dword v1, v[6:7], off
	v_add_u32_e32 v2, s33, v2
	v_cmp_le_i32_e32 vcc, s35, v2
	v_lshl_add_u64 v[6:7], s[16:17], 0, v[4:5]
	v_lshl_add_u64 v[4:5], v[4:5], 0, s[2:3]
	s_or_b64 s[4:5], vcc, s[4:5]
	s_waitcnt vmcnt(0)
	global_store_dword v[6:7], v1, off
	s_andn2_b64 exec, exec, s[4:5]
	s_cbranch_execnz .LBB14_97
.LBB14_98:
	s_or_b64 exec, exec, s[14:15]
	s_mov_b64 s[2:3], 0
.LBB14_99:
	s_and_b64 vcc, exec, s[2:3]
	s_cbranch_vccz .LBB14_109
; %bb.100:
	s_ashr_i32 s14, s34, 2
	v_cmp_gt_i32_e32 vcc, s14, v0
	s_and_saveexec_b64 s[2:3], vcc
	s_cbranch_execz .LBB14_108
; %bb.101:
	v_add_u32_e32 v1, 1, v0
	v_max_i32_e32 v2, s14, v1
	s_and_b32 s4, s33, 0xffff
	v_sub_u32_e32 v6, v2, v0
	s_cmp_eq_u32 s4, 1
	v_cmp_lt_u32_e32 vcc, 1, v6
	s_cselect_b64 s[4:5], -1, 0
	s_and_b64 s[18:19], vcc, s[4:5]
	s_mov_b64 s[12:13], -1
	v_mov_b32_e32 v2, v0
	s_and_saveexec_b64 s[4:5], s[18:19]
	s_cbranch_execz .LBB14_105
; %bb.102:
	v_and_b32_e32 v7, -2, v6
	s_mov_b64 s[12:13], 0
	v_mov_b32_e32 v3, 0
	v_mov_b32_e32 v8, v7
	v_mov_b64_e32 v[4:5], v[0:1]
.LBB14_103:                             ; =>This Inner Loop Header: Depth=1
	v_mov_b32_e32 v2, v4
	v_lshlrev_b64 v[18:19], 4, v[2:3]
	v_mov_b32_e32 v2, v5
	v_lshl_add_u64 v[20:21], s[30:31], 0, v[18:19]
	v_lshlrev_b64 v[22:23], 4, v[2:3]
	v_lshl_add_u64 v[24:25], s[30:31], 0, v[22:23]
	global_load_dwordx4 v[10:13], v[20:21], off
	global_load_dwordx4 v[14:17], v[24:25], off
	v_add_u32_e32 v8, -2, v8
	v_cmp_eq_u32_e32 vcc, 0, v8
	v_add_u32_e32 v4, 2, v4
	v_add_u32_e32 v5, 2, v5
	v_lshl_add_u64 v[18:19], s[16:17], 0, v[18:19]
	s_or_b64 s[12:13], vcc, s[12:13]
	v_lshl_add_u64 v[20:21], s[16:17], 0, v[22:23]
	s_waitcnt vmcnt(1)
	global_store_dwordx4 v[18:19], v[10:13], off
	s_waitcnt vmcnt(1)
	global_store_dwordx4 v[20:21], v[14:17], off
	s_andn2_b64 exec, exec, s[12:13]
	s_cbranch_execnz .LBB14_103
; %bb.104:
	s_or_b64 exec, exec, s[12:13]
	v_cmp_ne_u32_e32 vcc, v6, v7
	v_add_u32_e32 v2, v0, v7
	s_orn2_b64 s[12:13], vcc, exec
.LBB14_105:
	s_or_b64 exec, exec, s[4:5]
	s_and_b64 exec, exec, s[12:13]
	s_cbranch_execz .LBB14_108
; %bb.106:
	s_lshl_b32 s4, s33, 4
	s_add_u32 s8, s8, s28
	s_addc_u32 s9, s9, s29
	v_mov_b32_e32 v3, 0
	s_add_u32 s8, s8, 8
	s_mov_b32 s5, 0
	v_lshlrev_b64 v[4:5], 4, v[2:3]
	s_addc_u32 s9, s9, 0
	s_mov_b64 s[12:13], 0
.LBB14_107:                             ; =>This Inner Loop Header: Depth=1
	v_lshl_add_u64 v[6:7], s[8:9], 0, v[4:5]
	global_load_dwordx4 v[6:9], v[6:7], off offset:-8
	v_add_u32_e32 v2, s33, v2
	v_cmp_le_i32_e32 vcc, s14, v2
	v_lshl_add_u64 v[10:11], s[16:17], 0, v[4:5]
	v_lshl_add_u64 v[4:5], v[4:5], 0, s[4:5]
	s_or_b64 s[12:13], vcc, s[12:13]
	s_waitcnt vmcnt(0)
	global_store_dwordx4 v[10:11], v[6:9], off
	s_andn2_b64 exec, exec, s[12:13]
	s_cbranch_execnz .LBB14_107
.LBB14_108:
	s_or_b64 exec, exec, s[2:3]
.LBB14_109:
	s_and_b32 s2, s26, 15
	s_mov_b32 s3, 0
	s_cmp_lg_u64 s[2:3], 0
	s_cselect_b64 s[4:5], -1, 0
	s_xor_b64 s[0:1], s[0:1], -1
	s_or_b64 s[0:1], s[0:1], s[4:5]
	s_mov_b64 s[2:3], -1
	s_and_b64 vcc, exec, s[0:1]
	s_cbranch_vccz .LBB14_130
; %bb.110:
	s_sub_i32 s0, 0, s26
	s_bfe_u32 s0, s0, 0x20002
	s_min_i32 s0, s0, s34
	v_cmp_gt_i32_e32 vcc, s0, v0
	s_and_saveexec_b64 s[2:3], vcc
	s_cbranch_execz .LBB14_113
; %bb.111:
	v_lshlrev_b32_e32 v2, 2, v0
	s_mov_b32 s5, 0
	v_mov_b32_e32 v3, 0
	s_lshl_b32 s4, s33, 2
	s_mov_b64 s[8:9], 0
	v_mov_b32_e32 v1, v0
.LBB14_112:                             ; =>This Inner Loop Header: Depth=1
	v_lshl_add_u64 v[4:5], s[26:27], 0, v[2:3]
	global_load_dword v6, v[4:5], off
	v_add_u32_e32 v1, s33, v1
	v_cmp_le_i32_e32 vcc, s0, v1
	v_lshl_add_u64 v[4:5], s[6:7], 0, v[2:3]
	v_lshl_add_u64 v[2:3], v[2:3], 0, s[4:5]
	s_or_b64 s[8:9], vcc, s[8:9]
	s_waitcnt vmcnt(0)
	global_store_dword v[4:5], v6, off
	s_andn2_b64 exec, exec, s[8:9]
	s_cbranch_execnz .LBB14_112
.LBB14_113:
	s_or_b64 exec, exec, s[2:3]
	s_ashr_i32 s1, s0, 31
	s_lshl_b64 s[12:13], s[0:1], 2
	s_add_u32 s2, s26, s12
	s_addc_u32 s3, s27, s13
	s_add_u32 s4, s6, s12
	s_addc_u32 s5, s7, s13
	s_sub_i32 s18, s34, s0
	s_ashr_i32 s8, s18, 31
	s_lshr_b32 s8, s8, 30
	s_add_i32 s8, s18, s8
	s_ashr_i32 s19, s8, 2
	v_cmp_gt_i32_e32 vcc, s19, v0
	s_and_saveexec_b64 s[8:9], vcc
	s_cbranch_execz .LBB14_121
; %bb.114:
	v_add_u32_e32 v1, 1, v0
	v_max_i32_e32 v2, s19, v1
	s_and_b32 s14, s33, 0xffff
	v_sub_u32_e32 v6, v2, v0
	s_cmp_eq_u32 s14, 1
	v_cmp_lt_u32_e32 vcc, 1, v6
	s_cselect_b64 s[14:15], -1, 0
	s_and_b64 s[20:21], vcc, s[14:15]
	s_mov_b64 s[16:17], -1
	v_mov_b32_e32 v2, v0
	s_and_saveexec_b64 s[14:15], s[20:21]
	s_cbranch_execz .LBB14_118
; %bb.115:
	v_and_b32_e32 v7, -2, v6
	s_mov_b64 s[16:17], 0
	v_mov_b32_e32 v3, 0
	v_mov_b32_e32 v8, v7
	v_mov_b64_e32 v[4:5], v[0:1]
.LBB14_116:                             ; =>This Inner Loop Header: Depth=1
	v_mov_b32_e32 v2, v4
	v_lshlrev_b64 v[18:19], 4, v[2:3]
	v_mov_b32_e32 v2, v5
	v_lshl_add_u64 v[20:21], s[2:3], 0, v[18:19]
	v_lshlrev_b64 v[22:23], 4, v[2:3]
	v_lshl_add_u64 v[24:25], s[2:3], 0, v[22:23]
	global_load_dwordx4 v[10:13], v[20:21], off
	global_load_dwordx4 v[14:17], v[24:25], off
	v_add_u32_e32 v8, -2, v8
	v_cmp_eq_u32_e32 vcc, 0, v8
	v_add_u32_e32 v4, 2, v4
	v_add_u32_e32 v5, 2, v5
	v_lshl_add_u64 v[18:19], s[4:5], 0, v[18:19]
	s_or_b64 s[16:17], vcc, s[16:17]
	v_lshl_add_u64 v[20:21], s[4:5], 0, v[22:23]
	s_waitcnt vmcnt(1)
	global_store_dwordx4 v[18:19], v[10:13], off
	s_waitcnt vmcnt(1)
	global_store_dwordx4 v[20:21], v[14:17], off
	s_andn2_b64 exec, exec, s[16:17]
	s_cbranch_execnz .LBB14_116
; %bb.117:
	s_or_b64 exec, exec, s[16:17]
	v_cmp_ne_u32_e32 vcc, v6, v7
	v_add_u32_e32 v2, v0, v7
	s_orn2_b64 s[16:17], vcc, exec
.LBB14_118:
	s_or_b64 exec, exec, s[14:15]
	s_and_b64 exec, exec, s[16:17]
	s_cbranch_execz .LBB14_121
; %bb.119:
	v_mov_b32_e32 v3, 0
	s_lshl_b32 s14, s33, 4
	v_lshl_add_u64 v[4:5], v[2:3], 4, s[12:13]
	s_add_u32 s12, s10, s22
	s_addc_u32 s13, s11, s23
	s_add_u32 s12, s12, 8
	s_mov_b32 s15, 0
	s_addc_u32 s13, s13, 0
	s_mov_b64 s[16:17], 0
.LBB14_120:                             ; =>This Inner Loop Header: Depth=1
	v_lshl_add_u64 v[6:7], s[12:13], 0, v[4:5]
	global_load_dwordx4 v[6:9], v[6:7], off offset:-8
	v_add_u32_e32 v2, s33, v2
	v_cmp_le_i32_e32 vcc, s19, v2
	v_lshl_add_u64 v[10:11], s[6:7], 0, v[4:5]
	v_lshl_add_u64 v[4:5], v[4:5], 0, s[14:15]
	s_or_b64 s[16:17], vcc, s[16:17]
	s_waitcnt vmcnt(0)
	global_store_dwordx4 v[10:11], v[6:9], off
	s_andn2_b64 exec, exec, s[16:17]
	s_cbranch_execnz .LBB14_120
.LBB14_121:
	s_or_b64 exec, exec, s[8:9]
	v_lshl_add_u32 v2, s19, 2, v0
	v_cmp_gt_i32_e32 vcc, s18, v2
	s_and_saveexec_b64 s[8:9], vcc
	s_cbranch_execz .LBB14_129
; %bb.122:
	v_add_u32_e32 v1, 1, v2
	v_max_i32_e32 v1, s18, v1
	s_and_b32 s12, s33, 0xffff
	v_sub_u32_e32 v1, v1, v2
	s_cmp_eq_u32 s12, 1
	v_cmp_lt_u32_e32 vcc, 3, v1
	s_cselect_b64 s[12:13], -1, 0
	s_and_b64 s[16:17], vcc, s[12:13]
	s_mov_b64 s[14:15], -1
	s_and_saveexec_b64 s[12:13], s[16:17]
	s_cbranch_execz .LBB14_126
; %bb.123:
	v_and_b32_e32 v3, -4, v1
	s_mov_b64 s[14:15], 0
	v_mov_b32_e32 v4, v2
	v_mov_b32_e32 v6, v3
.LBB14_124:                             ; =>This Inner Loop Header: Depth=1
	v_ashrrev_i32_e32 v5, 31, v4
	v_lshlrev_b64 v[12:13], 2, v[4:5]
	v_lshl_add_u64 v[8:9], s[2:3], 0, v[12:13]
	global_load_dwordx4 v[8:11], v[8:9], off
	v_add_u32_e32 v6, -4, v6
	v_cmp_eq_u32_e32 vcc, 0, v6
	v_lshl_add_u64 v[12:13], s[4:5], 0, v[12:13]
	s_or_b64 s[14:15], vcc, s[14:15]
	v_add_u32_e32 v4, 4, v4
	s_waitcnt vmcnt(0)
	global_store_dwordx4 v[12:13], v[8:11], off
	s_andn2_b64 exec, exec, s[14:15]
	s_cbranch_execnz .LBB14_124
; %bb.125:
	s_or_b64 exec, exec, s[14:15]
	v_cmp_ne_u32_e32 vcc, v1, v3
	v_add_u32_e32 v2, v2, v3
	s_orn2_b64 s[14:15], vcc, exec
.LBB14_126:
	s_or_b64 exec, exec, s[12:13]
	s_and_b64 exec, exec, s[14:15]
	s_cbranch_execz .LBB14_129
; %bb.127:
	v_ashrrev_i32_e32 v3, 31, v2
	v_lshlrev_b64 v[4:5], 2, v[2:3]
	v_lshl_add_u64 v[4:5], s[0:1], 2, v[4:5]
	s_lshl_b32 s0, s33, 2
	s_mov_b32 s1, 0
	s_mov_b64 s[2:3], 0
.LBB14_128:                             ; =>This Inner Loop Header: Depth=1
	v_lshl_add_u64 v[6:7], s[26:27], 0, v[4:5]
	global_load_dword v1, v[6:7], off
	v_add_u32_e32 v2, s33, v2
	v_cmp_le_i32_e32 vcc, s18, v2
	v_lshl_add_u64 v[6:7], s[6:7], 0, v[4:5]
	v_lshl_add_u64 v[4:5], v[4:5], 0, s[0:1]
	s_or_b64 s[2:3], vcc, s[2:3]
	s_waitcnt vmcnt(0)
	global_store_dword v[6:7], v1, off
	s_andn2_b64 exec, exec, s[2:3]
	s_cbranch_execnz .LBB14_128
.LBB14_129:
	s_or_b64 exec, exec, s[8:9]
	s_mov_b64 s[2:3], 0
.LBB14_130:
	s_and_b64 vcc, exec, s[2:3]
	s_cbranch_vccz .LBB14_139
; %bb.131:
	s_ashr_i32 s8, s34, 2
	v_cmp_gt_i32_e32 vcc, s8, v0
	s_and_saveexec_b64 s[0:1], vcc
	s_cbranch_execz .LBB14_139
; %bb.132:
	v_add_u32_e32 v1, 1, v0
	v_max_i32_e32 v2, s8, v1
	s_and_b32 s0, s33, 0xffff
	v_sub_u32_e32 v6, v2, v0
	s_cmp_eq_u32 s0, 1
	v_cmp_lt_u32_e32 vcc, 1, v6
	s_cselect_b64 s[0:1], -1, 0
	s_and_b64 s[4:5], vcc, s[0:1]
	s_mov_b64 s[2:3], -1
	s_and_saveexec_b64 s[0:1], s[4:5]
	s_cbranch_execz .LBB14_136
; %bb.133:
	v_and_b32_e32 v7, -2, v6
	s_mov_b64 s[2:3], 0
	v_mov_b32_e32 v3, 0
	v_mov_b32_e32 v8, v7
	v_mov_b64_e32 v[4:5], v[0:1]
.LBB14_134:                             ; =>This Inner Loop Header: Depth=1
	v_mov_b32_e32 v2, v4
	v_lshlrev_b64 v[18:19], 4, v[2:3]
	v_mov_b32_e32 v2, v5
	v_lshl_add_u64 v[20:21], s[26:27], 0, v[18:19]
	v_lshlrev_b64 v[22:23], 4, v[2:3]
	v_lshl_add_u64 v[24:25], s[26:27], 0, v[22:23]
	global_load_dwordx4 v[10:13], v[20:21], off
	global_load_dwordx4 v[14:17], v[24:25], off
	v_add_u32_e32 v8, -2, v8
	v_cmp_eq_u32_e32 vcc, 0, v8
	v_add_u32_e32 v4, 2, v4
	v_add_u32_e32 v5, 2, v5
	v_lshl_add_u64 v[18:19], s[6:7], 0, v[18:19]
	s_or_b64 s[2:3], vcc, s[2:3]
	v_lshl_add_u64 v[20:21], s[6:7], 0, v[22:23]
	s_waitcnt vmcnt(1)
	global_store_dwordx4 v[18:19], v[10:13], off
	s_waitcnt vmcnt(1)
	global_store_dwordx4 v[20:21], v[14:17], off
	s_andn2_b64 exec, exec, s[2:3]
	s_cbranch_execnz .LBB14_134
; %bb.135:
	s_or_b64 exec, exec, s[2:3]
	v_cmp_ne_u32_e32 vcc, v6, v7
	v_add_u32_e32 v0, v0, v7
	s_orn2_b64 s[2:3], vcc, exec
.LBB14_136:
	s_or_b64 exec, exec, s[0:1]
	s_and_b64 exec, exec, s[2:3]
	s_cbranch_execz .LBB14_139
; %bb.137:
	s_lshl_b32 s0, s33, 4
	s_add_u32 s2, s10, s22
	s_addc_u32 s3, s11, s23
	v_mov_b32_e32 v1, 0
	s_add_u32 s2, s2, 8
	s_mov_b32 s1, 0
	v_lshlrev_b64 v[2:3], 4, v[0:1]
	s_addc_u32 s3, s3, 0
	s_mov_b64 s[4:5], 0
.LBB14_138:                             ; =>This Inner Loop Header: Depth=1
	v_lshl_add_u64 v[4:5], s[2:3], 0, v[2:3]
	global_load_dwordx4 v[4:7], v[4:5], off offset:-8
	v_add_u32_e32 v0, s33, v0
	v_cmp_le_i32_e32 vcc, s8, v0
	v_lshl_add_u64 v[8:9], s[6:7], 0, v[2:3]
	v_lshl_add_u64 v[2:3], v[2:3], 0, s[0:1]
	s_or_b64 s[4:5], vcc, s[4:5]
	s_waitcnt vmcnt(0)
	global_store_dwordx4 v[8:9], v[4:7], off
	s_andn2_b64 exec, exec, s[4:5]
	s_cbranch_execnz .LBB14_138
.LBB14_139:
	s_endpgm
.LBB14_140:
                                        ; implicit-def: $sgpr6_sgpr7
	s_branch .LBB14_3
	.section	.rodata,"a",@progbits
	.p2align	6, 0x0
	.amdhsa_kernel _ZN4vllm30reshape_and_cache_flash_kernelIffLNS_18Fp8KVCacheDataTypeE0EEEvPKT_S4_PT0_S6_PKlllllliiiPKfSA_
		.amdhsa_group_segment_fixed_size 0
		.amdhsa_private_segment_fixed_size 0
		.amdhsa_kernarg_size 368
		.amdhsa_user_sgpr_count 2
		.amdhsa_user_sgpr_dispatch_ptr 0
		.amdhsa_user_sgpr_queue_ptr 0
		.amdhsa_user_sgpr_kernarg_segment_ptr 1
		.amdhsa_user_sgpr_dispatch_id 0
		.amdhsa_user_sgpr_kernarg_preload_length 0
		.amdhsa_user_sgpr_kernarg_preload_offset 0
		.amdhsa_user_sgpr_private_segment_size 0
		.amdhsa_uses_dynamic_stack 0
		.amdhsa_enable_private_segment 0
		.amdhsa_system_sgpr_workgroup_id_x 1
		.amdhsa_system_sgpr_workgroup_id_y 0
		.amdhsa_system_sgpr_workgroup_id_z 0
		.amdhsa_system_sgpr_workgroup_info 0
		.amdhsa_system_vgpr_workitem_id 0
		.amdhsa_next_free_vgpr 54
		.amdhsa_next_free_sgpr 62
		.amdhsa_accum_offset 56
		.amdhsa_reserve_vcc 1
		.amdhsa_float_round_mode_32 0
		.amdhsa_float_round_mode_16_64 0
		.amdhsa_float_denorm_mode_32 3
		.amdhsa_float_denorm_mode_16_64 3
		.amdhsa_dx10_clamp 1
		.amdhsa_ieee_mode 1
		.amdhsa_fp16_overflow 0
		.amdhsa_tg_split 0
		.amdhsa_exception_fp_ieee_invalid_op 0
		.amdhsa_exception_fp_denorm_src 0
		.amdhsa_exception_fp_ieee_div_zero 0
		.amdhsa_exception_fp_ieee_overflow 0
		.amdhsa_exception_fp_ieee_underflow 0
		.amdhsa_exception_fp_ieee_inexact 0
		.amdhsa_exception_int_div_zero 0
	.end_amdhsa_kernel
	.section	.text._ZN4vllm30reshape_and_cache_flash_kernelIffLNS_18Fp8KVCacheDataTypeE0EEEvPKT_S4_PT0_S6_PKlllllliiiPKfSA_,"axG",@progbits,_ZN4vllm30reshape_and_cache_flash_kernelIffLNS_18Fp8KVCacheDataTypeE0EEEvPKT_S4_PT0_S6_PKlllllliiiPKfSA_,comdat
.Lfunc_end14:
	.size	_ZN4vllm30reshape_and_cache_flash_kernelIffLNS_18Fp8KVCacheDataTypeE0EEEvPKT_S4_PT0_S6_PKlllllliiiPKfSA_, .Lfunc_end14-_ZN4vllm30reshape_and_cache_flash_kernelIffLNS_18Fp8KVCacheDataTypeE0EEEvPKT_S4_PT0_S6_PKlllllliiiPKfSA_
                                        ; -- End function
	.set _ZN4vllm30reshape_and_cache_flash_kernelIffLNS_18Fp8KVCacheDataTypeE0EEEvPKT_S4_PT0_S6_PKlllllliiiPKfSA_.num_vgpr, 54
	.set _ZN4vllm30reshape_and_cache_flash_kernelIffLNS_18Fp8KVCacheDataTypeE0EEEvPKT_S4_PT0_S6_PKlllllliiiPKfSA_.num_agpr, 0
	.set _ZN4vllm30reshape_and_cache_flash_kernelIffLNS_18Fp8KVCacheDataTypeE0EEEvPKT_S4_PT0_S6_PKlllllliiiPKfSA_.numbered_sgpr, 62
	.set _ZN4vllm30reshape_and_cache_flash_kernelIffLNS_18Fp8KVCacheDataTypeE0EEEvPKT_S4_PT0_S6_PKlllllliiiPKfSA_.num_named_barrier, 0
	.set _ZN4vllm30reshape_and_cache_flash_kernelIffLNS_18Fp8KVCacheDataTypeE0EEEvPKT_S4_PT0_S6_PKlllllliiiPKfSA_.private_seg_size, 0
	.set _ZN4vllm30reshape_and_cache_flash_kernelIffLNS_18Fp8KVCacheDataTypeE0EEEvPKT_S4_PT0_S6_PKlllllliiiPKfSA_.uses_vcc, 1
	.set _ZN4vllm30reshape_and_cache_flash_kernelIffLNS_18Fp8KVCacheDataTypeE0EEEvPKT_S4_PT0_S6_PKlllllliiiPKfSA_.uses_flat_scratch, 0
	.set _ZN4vllm30reshape_and_cache_flash_kernelIffLNS_18Fp8KVCacheDataTypeE0EEEvPKT_S4_PT0_S6_PKlllllliiiPKfSA_.has_dyn_sized_stack, 0
	.set _ZN4vllm30reshape_and_cache_flash_kernelIffLNS_18Fp8KVCacheDataTypeE0EEEvPKT_S4_PT0_S6_PKlllllliiiPKfSA_.has_recursion, 0
	.set _ZN4vllm30reshape_and_cache_flash_kernelIffLNS_18Fp8KVCacheDataTypeE0EEEvPKT_S4_PT0_S6_PKlllllliiiPKfSA_.has_indirect_call, 0
	.section	.AMDGPU.csdata,"",@progbits
; Kernel info:
; codeLenInByte = 6416
; TotalNumSgprs: 68
; NumVgprs: 54
; NumAgprs: 0
; TotalNumVgprs: 54
; ScratchSize: 0
; MemoryBound: 0
; FloatMode: 240
; IeeeMode: 1
; LDSByteSize: 0 bytes/workgroup (compile time only)
; SGPRBlocks: 8
; VGPRBlocks: 6
; NumSGPRsForWavesPerEU: 68
; NumVGPRsForWavesPerEU: 54
; AccumOffset: 56
; Occupancy: 8
; WaveLimiterHint : 1
; COMPUTE_PGM_RSRC2:SCRATCH_EN: 0
; COMPUTE_PGM_RSRC2:USER_SGPR: 2
; COMPUTE_PGM_RSRC2:TRAP_HANDLER: 0
; COMPUTE_PGM_RSRC2:TGID_X_EN: 1
; COMPUTE_PGM_RSRC2:TGID_Y_EN: 0
; COMPUTE_PGM_RSRC2:TGID_Z_EN: 0
; COMPUTE_PGM_RSRC2:TIDIG_COMP_CNT: 0
; COMPUTE_PGM_RSRC3_GFX90A:ACCUM_OFFSET: 13
; COMPUTE_PGM_RSRC3_GFX90A:TG_SPLIT: 0
	.section	.text._ZN4vllm30reshape_and_cache_flash_kernelIttLNS_18Fp8KVCacheDataTypeE0EEEvPKT_S4_PT0_S6_PKlllllliiiPKfSA_,"axG",@progbits,_ZN4vllm30reshape_and_cache_flash_kernelIttLNS_18Fp8KVCacheDataTypeE0EEEvPKT_S4_PT0_S6_PKlllllliiiPKfSA_,comdat
	.protected	_ZN4vllm30reshape_and_cache_flash_kernelIttLNS_18Fp8KVCacheDataTypeE0EEEvPKT_S4_PT0_S6_PKlllllliiiPKfSA_ ; -- Begin function _ZN4vllm30reshape_and_cache_flash_kernelIttLNS_18Fp8KVCacheDataTypeE0EEEvPKT_S4_PT0_S6_PKlllllliiiPKfSA_
	.globl	_ZN4vllm30reshape_and_cache_flash_kernelIttLNS_18Fp8KVCacheDataTypeE0EEEvPKT_S4_PT0_S6_PKlllllliiiPKfSA_
	.p2align	8
	.type	_ZN4vllm30reshape_and_cache_flash_kernelIttLNS_18Fp8KVCacheDataTypeE0EEEvPKT_S4_PT0_S6_PKlllllliiiPKfSA_,@function
_ZN4vllm30reshape_and_cache_flash_kernelIttLNS_18Fp8KVCacheDataTypeE0EEEvPKT_S4_PT0_S6_PKlllllliiiPKfSA_: ; @_ZN4vllm30reshape_and_cache_flash_kernelIttLNS_18Fp8KVCacheDataTypeE0EEEvPKT_S4_PT0_S6_PKlllllliiiPKfSA_
; %bb.0:
	s_load_dwordx2 s[4:5], s[0:1], 0x20
	s_mov_b32 s3, 0
	s_lshl_b64 s[6:7], s[2:3], 3
	s_waitcnt lgkmcnt(0)
	s_add_u32 s4, s4, s6
	s_addc_u32 s5, s5, s7
	s_load_dwordx2 s[4:5], s[4:5], 0x0
	s_waitcnt lgkmcnt(0)
	v_cmp_lt_i64_e64 s[6:7], s[4:5], 0
	s_and_b64 vcc, exec, s[6:7]
	s_cbranch_vccnz .LBB15_139
; %bb.1:
	s_load_dwordx4 s[24:27], s[0:1], 0x50
	s_load_dwordx8 s[8:15], s[0:1], 0x0
	s_waitcnt lgkmcnt(0)
	s_ashr_i32 s27, s26, 31
	s_or_b64 s[6:7], s[4:5], s[26:27]
	s_mov_b32 s6, s3
	s_cmp_lg_u64 s[6:7], 0
	s_cbranch_scc0 .LBB15_140
; %bb.2:
	s_ashr_i32 s6, s27, 31
	s_add_u32 s16, s26, s6
	s_mov_b32 s7, s6
	s_addc_u32 s17, s27, s6
	s_xor_b64 s[18:19], s[16:17], s[6:7]
	v_cvt_f32_u32_e32 v1, s18
	v_cvt_f32_u32_e32 v2, s19
	s_sub_u32 s3, 0, s18
	s_subb_u32 s22, 0, s19
	v_fmamk_f32 v1, v2, 0x4f800000, v1
	v_rcp_f32_e32 v1, v1
	s_nop 0
	v_mul_f32_e32 v1, 0x5f7ffffc, v1
	v_mul_f32_e32 v2, 0x2f800000, v1
	v_trunc_f32_e32 v2, v2
	v_fmamk_f32 v1, v2, 0xcf800000, v1
	v_cvt_u32_f32_e32 v2, v2
	v_cvt_u32_f32_e32 v1, v1
	v_readfirstlane_b32 s23, v2
	v_readfirstlane_b32 s20, v1
	s_mul_i32 s21, s3, s23
	s_mul_hi_u32 s29, s3, s20
	s_mul_i32 s28, s22, s20
	s_add_i32 s21, s29, s21
	s_add_i32 s21, s21, s28
	s_mul_i32 s30, s3, s20
	s_mul_i32 s29, s20, s21
	s_mul_hi_u32 s31, s20, s30
	s_mul_hi_u32 s28, s20, s21
	s_add_u32 s29, s31, s29
	s_addc_u32 s28, 0, s28
	s_mul_hi_u32 s33, s23, s30
	s_mul_i32 s30, s23, s30
	s_add_u32 s29, s29, s30
	s_mul_hi_u32 s31, s23, s21
	s_addc_u32 s28, s28, s33
	s_addc_u32 s29, s31, 0
	s_mul_i32 s21, s23, s21
	s_add_u32 s21, s28, s21
	s_addc_u32 s28, 0, s29
	s_add_u32 s29, s20, s21
	s_cselect_b64 s[20:21], -1, 0
	s_cmp_lg_u64 s[20:21], 0
	s_addc_u32 s23, s23, s28
	s_mul_i32 s20, s3, s23
	s_mul_hi_u32 s21, s3, s29
	s_add_i32 s20, s21, s20
	s_mul_i32 s22, s22, s29
	s_add_i32 s20, s20, s22
	s_mul_i32 s3, s3, s29
	s_mul_hi_u32 s22, s23, s3
	s_mul_i32 s28, s23, s3
	s_mul_i32 s31, s29, s20
	s_mul_hi_u32 s3, s29, s3
	s_mul_hi_u32 s30, s29, s20
	s_add_u32 s3, s3, s31
	s_addc_u32 s30, 0, s30
	s_add_u32 s3, s3, s28
	s_mul_hi_u32 s21, s23, s20
	s_addc_u32 s3, s30, s22
	s_addc_u32 s21, s21, 0
	s_mul_i32 s20, s23, s20
	s_add_u32 s3, s3, s20
	s_addc_u32 s22, 0, s21
	s_add_u32 s3, s29, s3
	s_cselect_b64 s[20:21], -1, 0
	s_cmp_lg_u64 s[20:21], 0
	s_addc_u32 s28, s23, s22
	s_ashr_i32 s20, s5, 31
	s_add_u32 s22, s4, s20
	s_mov_b32 s21, s20
	s_addc_u32 s23, s5, s20
	s_xor_b64 s[22:23], s[22:23], s[20:21]
	s_mul_i32 s30, s22, s28
	s_mul_hi_u32 s31, s22, s3
	s_mul_hi_u32 s29, s22, s28
	s_add_u32 s30, s31, s30
	s_addc_u32 s29, 0, s29
	s_mul_hi_u32 s33, s23, s3
	s_mul_i32 s3, s23, s3
	s_add_u32 s3, s30, s3
	s_mul_hi_u32 s31, s23, s28
	s_addc_u32 s3, s29, s33
	s_addc_u32 s29, s31, 0
	s_mul_i32 s28, s23, s28
	s_add_u32 s3, s3, s28
	s_addc_u32 s33, 0, s29
	s_mul_i32 s28, s18, s33
	s_mul_hi_u32 s29, s18, s3
	s_add_i32 s28, s29, s28
	s_mul_i32 s29, s19, s3
	s_add_i32 s34, s28, s29
	s_sub_i32 s30, s23, s34
	s_mul_i32 s28, s18, s3
	s_sub_u32 s22, s22, s28
	s_cselect_b64 s[28:29], -1, 0
	s_cmp_lg_u64 s[28:29], 0
	s_subb_u32 s35, s30, s19
	s_sub_u32 s36, s22, s18
	s_cselect_b64 s[30:31], -1, 0
	s_cmp_lg_u64 s[30:31], 0
	s_subb_u32 s30, s35, 0
	s_cmp_ge_u32 s30, s19
	s_cselect_b32 s31, -1, 0
	s_cmp_ge_u32 s36, s18
	s_cselect_b32 s35, -1, 0
	s_cmp_eq_u32 s30, s19
	s_cselect_b32 s30, s35, s31
	s_add_u32 s31, s3, 1
	s_addc_u32 s35, s33, 0
	s_add_u32 s36, s3, 2
	s_addc_u32 s37, s33, 0
	s_cmp_lg_u32 s30, 0
	s_cselect_b32 s30, s36, s31
	s_cselect_b32 s31, s37, s35
	s_cmp_lg_u64 s[28:29], 0
	s_subb_u32 s23, s23, s34
	s_cmp_ge_u32 s23, s19
	s_cselect_b32 s28, -1, 0
	s_cmp_ge_u32 s22, s18
	s_cselect_b32 s18, -1, 0
	s_cmp_eq_u32 s23, s19
	s_cselect_b32 s18, s18, s28
	s_cmp_lg_u32 s18, 0
	s_cselect_b32 s19, s31, s33
	s_cselect_b32 s18, s30, s3
	s_xor_b64 s[6:7], s[20:21], s[6:7]
	s_xor_b64 s[18:19], s[18:19], s[6:7]
	s_sub_u32 s6, s18, s6
	s_subb_u32 s7, s19, s7
	s_cbranch_execnz .LBB15_4
.LBB15_3:
	v_cvt_f32_u32_e32 v1, s26
	s_sub_i32 s3, 0, s26
	s_mov_b32 s7, 0
	v_rcp_iflag_f32_e32 v1, v1
	s_nop 0
	v_mul_f32_e32 v1, 0x4f7ffffe, v1
	v_cvt_u32_f32_e32 v1, v1
	s_nop 0
	v_readfirstlane_b32 s6, v1
	s_mul_i32 s3, s3, s6
	s_mul_hi_u32 s3, s6, s3
	s_add_i32 s6, s6, s3
	s_mul_hi_u32 s3, s4, s6
	s_mul_i32 s16, s3, s26
	s_sub_i32 s16, s4, s16
	s_add_i32 s6, s3, 1
	s_sub_i32 s17, s16, s26
	s_cmp_ge_u32 s16, s26
	s_cselect_b32 s3, s6, s3
	s_cselect_b32 s16, s17, s16
	s_add_i32 s6, s3, 1
	s_cmp_ge_u32 s16, s26
	s_cselect_b32 s6, s6, s3
.LBB15_4:
	s_load_dwordx8 s[16:23], s[0:1], 0x28
	s_load_dwordx2 s[34:35], s[0:1], 0x48
	s_mul_i32 s3, s6, s27
	s_mul_hi_u32 s27, s6, s26
	s_add_i32 s3, s27, s3
	s_mul_i32 s27, s7, s26
	s_add_i32 s3, s3, s27
	s_mul_i32 s26, s6, s26
	s_sub_u32 s33, s4, s26
	s_subb_u32 s3, s5, s3
	s_waitcnt lgkmcnt(0)
	s_mul_i32 s4, s23, s2
	s_mul_hi_u32 s5, s22, s2
	s_add_i32 s5, s5, s4
	s_mul_i32 s4, s22, s2
	s_lshl_b64 s[28:29], s[4:5], 1
	s_add_u32 s30, s8, s28
	s_load_dword s36, s[0:1], 0x7c
	s_mul_i32 s0, s35, s2
	s_mul_hi_u32 s1, s34, s2
	s_addc_u32 s31, s9, s29
	s_add_i32 s1, s1, s0
	s_mul_i32 s0, s34, s2
	s_lshl_b64 s[22:23], s[0:1], 1
	s_add_u32 s26, s10, s22
	s_mul_i32 s0, s6, s17
	s_mul_hi_u32 s1, s6, s16
	s_addc_u32 s27, s11, s23
	s_add_i32 s0, s1, s0
	s_mul_i32 s1, s7, s16
	s_add_i32 s1, s0, s1
	s_mul_i32 s0, s6, s16
	s_lshl_b64 s[4:5], s[0:1], 1
	s_add_u32 s2, s12, s4
	s_mul_i32 s0, s33, s19
	s_mul_hi_u32 s1, s33, s18
	s_addc_u32 s6, s13, s5
	s_add_i32 s0, s1, s0
	s_mul_i32 s3, s3, s18
	s_add_i32 s1, s0, s3
	s_mul_i32 s0, s33, s18
	s_lshl_b64 s[34:35], s[0:1], 1
	s_add_u32 s16, s2, s34
	s_addc_u32 s17, s6, s35
	s_add_u32 s0, s14, s4
	s_addc_u32 s1, s15, s5
	;; [unrolled: 2-line block ×3, first 2 shown]
	s_ashr_i32 s1, s25, 31
	s_mov_b32 s0, s25
	s_waitcnt lgkmcnt(0)
	s_and_b32 s33, s36, 0xffff
	s_cmp_lg_u64 s[20:21], s[0:1]
	s_mov_b64 s[0:1], -1
	s_cbranch_scc0 .LBB15_77
; %bb.5:
	v_lshrrev_b32_e32 v1, 5, v0
	v_cmp_gt_i32_e32 vcc, s24, v1
	s_and_saveexec_b64 s[18:19], vcc
	s_cbranch_execz .LBB15_76
; %bb.6:
	s_lshr_b32 s56, s33, 5
	s_and_b32 s0, s25, 7
	s_cmp_eq_u32 s0, 0
	s_cselect_b64 s[42:43], -1, 0
	s_ashr_i32 s57, s25, 3
	v_bitop3_b32 v42, v0, 31, v0 bitop3:0x3f
	v_add_u32_e32 v6, s57, v42
	v_lshrrev_b32_e32 v2, 5, v6
	v_add_u32_e32 v7, 1, v2
	s_movk_i32 s58, 0x5f
	v_and_b32_e32 v43, 0xffffffc, v7
	v_cmp_lt_u32_e64 s[0:1], s58, v6
	v_cmp_ne_u32_e64 s[2:3], v7, v43
	v_mad_u64_u32 v[6:7], s[36:37], s20, v1, 0
	v_mov_b32_e32 v8, v7
	v_mad_u64_u32 v[8:9], s[36:37], s21, v1, v[8:9]
	s_add_u32 s4, s34, s4
	v_mov_b32_e32 v7, v8
	s_addc_u32 s5, s35, s5
	v_lshl_add_u64 v[6:7], v[6:7], 1, s[4:5]
	s_mul_i32 s4, s21, s56
	s_mul_hi_u32 s5, s20, s56
	s_add_i32 s5, s5, s4
	s_mul_i32 s4, s20, s56
	v_lshl_add_u64 v[18:19], s[12:13], 0, v[6:7]
	s_lshl_b64 s[12:13], s[4:5], 1
	s_add_u32 s34, s8, s28
	s_addc_u32 s35, s9, s29
	s_add_u32 s36, s34, 8
	s_addc_u32 s37, s35, 0
	v_lshl_add_u64 v[22:23], s[14:15], 0, v[6:7]
	s_add_u32 s14, s10, s22
	s_addc_u32 s15, s11, s23
	v_and_b32_e32 v12, 31, v0
	v_mov_b32_e32 v15, 0
	s_add_u32 s38, s14, 8
	v_cmp_gt_i32_e32 vcc, s57, v12
	v_mov_b32_e32 v13, v15
	v_or_b32_e32 v3, 32, v12
	v_or_b32_e32 v5, 0x60, v12
	;; [unrolled: 1-line block ×3, first 2 shown]
	v_mov_b32_e32 v2, v12
	v_lshl_or_b32 v16, v43, 5, v12
	v_mul_lo_u32 v20, s25, v1
	s_mul_i32 s59, s25, s56
	s_addc_u32 s39, s15, 0
	s_mov_b64 s[40:41], 0
	s_xor_b64 s[42:43], s[42:43], -1
	s_mov_b64 s[44:45], 0x200
	v_lshlrev_b32_e32 v24, 1, v12
	s_branch .LBB15_9
.LBB15_7:                               ;   in Loop: Header=BB15_9 Depth=1
	s_or_b64 exec, exec, s[48:49]
.LBB15_8:                               ;   in Loop: Header=BB15_9 Depth=1
	s_or_b64 exec, exec, s[46:47]
	v_add_u32_e32 v1, s56, v1
	v_cmp_le_i32_e64 s[4:5], s24, v1
	v_lshl_add_u64 v[18:19], v[18:19], 0, s[12:13]
	v_add_u32_e32 v20, s59, v20
	s_or_b64 s[40:41], s[4:5], s[40:41]
	v_lshl_add_u64 v[22:23], v[22:23], 0, s[12:13]
	s_andn2_b64 exec, exec, s[40:41]
	s_cbranch_execz .LBB15_76
.LBB15_9:                               ; =>This Loop Header: Depth=1
                                        ;     Child Loop BB15_15 Depth 2
                                        ;     Child Loop BB15_21 Depth 2
	;; [unrolled: 1-line block ×12, first 2 shown]
	v_mul_lo_u32 v28, v1, s25
	v_ashrrev_i32_e32 v29, 31, v28
	v_mad_u64_u32 v[30:31], s[4:5], s20, v1, 0
	v_lshl_add_u64 v[10:11], v[28:29], 1, s[30:31]
	v_mov_b32_e32 v6, v31
	v_ashrrev_i32_e32 v21, 31, v20
	v_mad_u64_u32 v[6:7], s[4:5], s21, v1, v[6:7]
	v_and_b32_e32 v14, 15, v10
	v_lshlrev_b64 v[26:27], 1, v[20:21]
	v_mov_b32_e32 v31, v6
	v_cmp_ne_u64_e64 s[4:5], 0, v[14:15]
	v_lshl_add_u64 v[32:33], s[34:35], 0, v[26:27]
	v_lshl_add_u64 v[38:39], v[30:31], 1, s[16:17]
	s_or_b64 s[4:5], s[42:43], s[4:5]
	s_and_saveexec_b64 s[46:47], s[4:5]
	s_xor_b64 s[46:47], exec, s[46:47]
	s_cbranch_execz .LBB15_31
; %bb.10:                               ;   in Loop: Header=BB15_9 Depth=1
	v_sub_u32_e32 v6, 0, v10
	v_bfe_u32 v6, v6, 1, 3
	v_min_i32_e32 v34, s25, v6
	v_cmp_lt_i32_e64 s[4:5], v12, v34
	s_and_saveexec_b64 s[48:49], s[4:5]
	s_cbranch_execz .LBB15_12
; %bb.11:                               ;   in Loop: Header=BB15_9 Depth=1
	v_mov_b32_e32 v25, v15
	v_lshl_add_u64 v[6:7], v[10:11], 0, v[24:25]
	global_load_ushort v8, v[6:7], off
	v_lshl_add_u64 v[6:7], v[38:39], 0, v[24:25]
	s_waitcnt vmcnt(0)
	global_store_short v[6:7], v8, off
.LBB15_12:                              ;   in Loop: Header=BB15_9 Depth=1
	s_or_b64 exec, exec, s[48:49]
	v_sub_u32_e32 v17, s25, v34
	v_ashrrev_i32_e32 v6, 31, v17
	v_ashrrev_i32_e32 v35, 31, v34
	v_lshrrev_b32_e32 v6, 29, v6
	v_lshlrev_b64 v[40:41], 1, v[34:35]
	v_add_u32_e32 v6, v17, v6
	v_lshl_add_u64 v[36:37], v[10:11], 0, v[40:41]
	v_ashrrev_i32_e32 v10, 3, v6
	v_lshl_add_u64 v[38:39], v[38:39], 0, v[40:41]
	v_cmp_lt_i32_e64 s[4:5], v12, v10
	s_and_saveexec_b64 s[48:49], s[4:5]
	s_cbranch_execz .LBB15_22
; %bb.13:                               ;   in Loop: Header=BB15_9 Depth=1
	v_add_u32_e32 v8, v10, v42
	v_cmp_lt_u32_e64 s[4:5], s58, v8
	s_mov_b64 s[52:53], -1
	v_mov_b32_e32 v14, v12
	v_mov_b64_e32 v[6:7], v[12:13]
	s_and_saveexec_b64 s[50:51], s[4:5]
	s_cbranch_execz .LBB15_19
; %bb.14:                               ;   in Loop: Header=BB15_9 Depth=1
	v_lshrrev_b32_e32 v6, 5, v8
	v_add_u32_e32 v21, 1, v6
	v_and_b32_e32 v11, 0xffffffc, v21
	v_mov_b64_e32 v[8:9], v[4:5]
	s_mov_b64 s[52:53], 0
	v_mov_b32_e32 v25, v11
	v_mov_b64_e32 v[6:7], v[2:3]
.LBB15_15:                              ;   Parent Loop BB15_9 Depth=1
                                        ; =>  This Inner Loop Header: Depth=2
	v_mov_b32_e32 v14, v6
	v_lshlrev_b64 v[60:61], 4, v[14:15]
	v_mov_b32_e32 v14, v7
	v_lshlrev_b64 v[62:63], 4, v[14:15]
	;; [unrolled: 2-line block ×4, first 2 shown]
	v_lshl_add_u64 v[44:45], v[36:37], 0, v[60:61]
	v_lshl_add_u64 v[48:49], v[36:37], 0, v[62:63]
	;; [unrolled: 1-line block ×4, first 2 shown]
	global_load_dwordx4 v[44:47], v[44:45], off
	v_add_u32_e32 v25, -4, v25
	global_load_dwordx4 v[48:51], v[48:49], off
	s_nop 0
	global_load_dwordx4 v[52:55], v[52:53], off
	s_nop 0
	global_load_dwordx4 v[56:59], v[56:57], off
	v_cmp_eq_u32_e64 s[4:5], 0, v25
	v_add_u32_e32 v6, 0x80, v6
	v_add_u32_e32 v7, 0x80, v7
	v_lshl_add_u64 v[60:61], v[38:39], 0, v[60:61]
	v_add_u32_e32 v8, 0x80, v8
	s_or_b64 s[52:53], s[4:5], s[52:53]
	v_add_u32_e32 v9, 0x80, v9
	v_lshl_add_u64 v[62:63], v[38:39], 0, v[62:63]
	v_lshl_add_u64 v[64:65], v[38:39], 0, v[64:65]
	;; [unrolled: 1-line block ×3, first 2 shown]
	s_waitcnt vmcnt(3)
	global_store_dwordx4 v[60:61], v[44:47], off
	s_waitcnt vmcnt(3)
	global_store_dwordx2 v[62:63], v[48:49], off
	global_store_dwordx2 v[62:63], v[50:51], off offset:8
	s_waitcnt vmcnt(4)
	global_store_dwordx4 v[64:65], v[52:55], off
	s_waitcnt vmcnt(4)
	global_store_dwordx4 v[66:67], v[56:59], off
	s_andn2_b64 exec, exec, s[52:53]
	s_cbranch_execnz .LBB15_15
; %bb.16:                               ;   in Loop: Header=BB15_9 Depth=1
	s_or_b64 exec, exec, s[52:53]
	v_cmp_ne_u32_e64 s[4:5], v21, v11
	s_mov_b64 s[52:53], 0
                                        ; implicit-def: $vgpr6_vgpr7
	s_and_saveexec_b64 s[54:55], s[4:5]
; %bb.17:                               ;   in Loop: Header=BB15_9 Depth=1
	v_lshl_or_b32 v14, v11, 5, v12
	s_mov_b64 s[52:53], exec
	v_mov_b64_e32 v[6:7], v[14:15]
; %bb.18:                               ;   in Loop: Header=BB15_9 Depth=1
	s_or_b64 exec, exec, s[54:55]
	s_orn2_b64 s[52:53], s[52:53], exec
.LBB15_19:                              ;   in Loop: Header=BB15_9 Depth=1
	s_or_b64 exec, exec, s[50:51]
	s_and_b64 exec, exec, s[52:53]
	s_cbranch_execz .LBB15_22
; %bb.20:                               ;   in Loop: Header=BB15_9 Depth=1
	v_lshl_add_u64 v[8:9], v[6:7], 4, v[40:41]
	v_lshl_add_u64 v[6:7], v[18:19], 0, v[8:9]
	;; [unrolled: 1-line block ×4, first 2 shown]
	s_mov_b64 s[50:51], 0
.LBB15_21:                              ;   Parent Loop BB15_9 Depth=1
                                        ; =>  This Inner Loop Header: Depth=2
	global_load_dwordx4 v[44:47], v[8:9], off offset:-8
	v_add_u32_e32 v14, 32, v14
	v_cmp_ge_i32_e64 s[4:5], v14, v10
	v_lshl_add_u64 v[8:9], v[8:9], 0, s[44:45]
	s_or_b64 s[50:51], s[4:5], s[50:51]
	s_waitcnt vmcnt(0)
	global_store_dwordx4 v[6:7], v[44:47], off
	v_lshl_add_u64 v[6:7], v[6:7], 0, s[44:45]
	s_andn2_b64 exec, exec, s[50:51]
	s_cbranch_execnz .LBB15_21
.LBB15_22:                              ;   in Loop: Header=BB15_9 Depth=1
	s_or_b64 exec, exec, s[48:49]
	v_lshlrev_b32_e32 v7, 3, v10
	v_add_u32_e32 v6, v7, v12
	v_cmp_lt_i32_e64 s[4:5], v6, v17
	s_and_saveexec_b64 s[48:49], s[4:5]
	s_cbranch_execz .LBB15_30
; %bb.23:                               ;   in Loop: Header=BB15_9 Depth=1
	v_add_u32_e32 v8, v3, v7
	v_max_i32_e32 v8, v8, v17
	v_add_u32_e32 v8, v8, v42
	v_sub_u32_e32 v7, v8, v7
	v_cmp_lt_u32_e64 s[4:5], s58, v7
	s_mov_b64 s[52:53], -1
	s_and_saveexec_b64 s[50:51], s[4:5]
	s_cbranch_execz .LBB15_27
; %bb.24:                               ;   in Loop: Header=BB15_9 Depth=1
	v_lshrrev_b32_e32 v7, 5, v7
	v_add_u32_e32 v14, 1, v7
	v_add_u32_e32 v9, 0x60, v6
	;; [unrolled: 1-line block ×3, first 2 shown]
	v_and_b32_e32 v21, 0xffffffc, v14
	v_add_u32_e32 v7, 32, v6
	v_mov_b64_e32 v[10:11], v[8:9]
	s_mov_b64 s[52:53], 0
	v_mov_b32_e32 v25, v21
	v_mov_b64_e32 v[8:9], v[6:7]
.LBB15_25:                              ;   Parent Loop BB15_9 Depth=1
                                        ; =>  This Inner Loop Header: Depth=2
	v_ashrrev_i32_e32 v47, 31, v9
	v_mov_b32_e32 v46, v9
	v_ashrrev_i32_e32 v49, 31, v8
	v_mov_b32_e32 v48, v8
	v_ashrrev_i32_e32 v41, 31, v11
	v_mov_b32_e32 v40, v11
	v_ashrrev_i32_e32 v45, 31, v10
	v_mov_b32_e32 v44, v10
	v_lshlrev_b64 v[48:49], 1, v[48:49]
	v_lshlrev_b64 v[46:47], 1, v[46:47]
	v_lshlrev_b64 v[44:45], 1, v[44:45]
	v_lshlrev_b64 v[40:41], 1, v[40:41]
	v_lshl_add_u64 v[50:51], v[36:37], 0, v[48:49]
	v_lshl_add_u64 v[52:53], v[36:37], 0, v[46:47]
	;; [unrolled: 1-line block ×4, first 2 shown]
	global_load_ushort v7, v[50:51], off
	s_nop 0
	global_load_ushort v50, v[52:53], off
	global_load_ushort v51, v[54:55], off
	s_nop 0
	global_load_ushort v52, v[56:57], off
	v_add_u32_e32 v25, -4, v25
	v_cmp_eq_u32_e64 s[4:5], 0, v25
	v_add_u32_e32 v11, 0x80, v11
	v_add_u32_e32 v10, 0x80, v10
	v_add_u32_e32 v9, 0x80, v9
	v_add_u32_e32 v8, 0x80, v8
	v_lshl_add_u64 v[48:49], v[38:39], 0, v[48:49]
	s_or_b64 s[52:53], s[4:5], s[52:53]
	v_lshl_add_u64 v[46:47], v[38:39], 0, v[46:47]
	v_lshl_add_u64 v[44:45], v[38:39], 0, v[44:45]
	;; [unrolled: 1-line block ×3, first 2 shown]
	s_waitcnt vmcnt(3)
	global_store_short v[48:49], v7, off
	s_waitcnt vmcnt(3)
	global_store_short v[46:47], v50, off
	;; [unrolled: 2-line block ×4, first 2 shown]
	s_andn2_b64 exec, exec, s[52:53]
	s_cbranch_execnz .LBB15_25
; %bb.26:                               ;   in Loop: Header=BB15_9 Depth=1
	s_or_b64 exec, exec, s[52:53]
	v_cmp_ne_u32_e64 s[4:5], v14, v21
	v_lshl_add_u32 v6, v21, 5, v6
	s_orn2_b64 s[52:53], s[4:5], exec
.LBB15_27:                              ;   in Loop: Header=BB15_9 Depth=1
	s_or_b64 exec, exec, s[50:51]
	s_and_b64 exec, exec, s[52:53]
	s_cbranch_execz .LBB15_30
; %bb.28:                               ;   in Loop: Header=BB15_9 Depth=1
	v_ashrrev_i32_e32 v7, 31, v6
	v_lshlrev_b64 v[8:9], 1, v[6:7]
	v_lshl_add_u64 v[8:9], v[34:35], 1, v[8:9]
	s_mov_b64 s[50:51], 0
.LBB15_29:                              ;   Parent Loop BB15_9 Depth=1
                                        ; =>  This Inner Loop Header: Depth=2
	v_lshl_add_u64 v[10:11], v[32:33], 0, v[8:9]
	global_load_ushort v7, v[10:11], off
	v_add_u32_e32 v6, 32, v6
	v_cmp_ge_i32_e64 s[4:5], v6, v17
	v_lshl_add_u64 v[10:11], v[18:19], 0, v[8:9]
	v_lshl_add_u64 v[8:9], v[8:9], 0, 64
	s_or_b64 s[50:51], s[4:5], s[50:51]
	s_waitcnt vmcnt(0)
	global_store_short v[10:11], v7, off
	s_andn2_b64 exec, exec, s[50:51]
	s_cbranch_execnz .LBB15_29
.LBB15_30:                              ;   in Loop: Header=BB15_9 Depth=1
	s_or_b64 exec, exec, s[48:49]
                                        ; implicit-def: $vgpr32_vgpr33
                                        ; implicit-def: $vgpr10_vgpr11
                                        ; implicit-def: $vgpr38_vgpr39
.LBB15_31:                              ;   in Loop: Header=BB15_9 Depth=1
	s_andn2_saveexec_b64 s[46:47], s[46:47]
	s_cbranch_execz .LBB15_43
; %bb.32:                               ;   in Loop: Header=BB15_9 Depth=1
	s_and_saveexec_b64 s[48:49], vcc
	s_cbranch_execz .LBB15_42
; %bb.33:                               ;   in Loop: Header=BB15_9 Depth=1
	s_mov_b64 s[4:5], -1
	v_mov_b32_e32 v8, v12
	v_mov_b64_e32 v[6:7], v[12:13]
	s_and_saveexec_b64 s[50:51], s[0:1]
	s_cbranch_execz .LBB15_39
; %bb.34:                               ;   in Loop: Header=BB15_9 Depth=1
	v_mov_b64_e32 v[8:9], v[4:5]
	s_mov_b64 s[52:53], 0
	v_mov_b32_e32 v17, v43
	v_mov_b64_e32 v[6:7], v[2:3]
.LBB15_35:                              ;   Parent Loop BB15_9 Depth=1
                                        ; =>  This Inner Loop Header: Depth=2
	v_mov_b32_e32 v14, v6
	v_lshlrev_b64 v[40:41], 4, v[14:15]
	v_mov_b32_e32 v14, v7
	v_lshlrev_b64 v[56:57], 4, v[14:15]
	;; [unrolled: 2-line block ×4, first 2 shown]
	v_lshl_add_u64 v[34:35], v[10:11], 0, v[40:41]
	v_lshl_add_u64 v[44:45], v[10:11], 0, v[56:57]
	;; [unrolled: 1-line block ×4, first 2 shown]
	global_load_dwordx4 v[34:37], v[34:35], off
	v_add_u32_e32 v17, -4, v17
	global_load_dwordx4 v[44:47], v[44:45], off
	s_nop 0
	global_load_dwordx4 v[48:51], v[48:49], off
	s_nop 0
	global_load_dwordx4 v[52:55], v[52:53], off
	v_cmp_eq_u32_e64 s[4:5], 0, v17
	v_add_u32_e32 v6, 0x80, v6
	v_add_u32_e32 v7, 0x80, v7
	v_lshl_add_u64 v[40:41], v[38:39], 0, v[40:41]
	v_add_u32_e32 v8, 0x80, v8
	s_or_b64 s[52:53], s[4:5], s[52:53]
	v_add_u32_e32 v9, 0x80, v9
	v_lshl_add_u64 v[56:57], v[38:39], 0, v[56:57]
	v_lshl_add_u64 v[58:59], v[38:39], 0, v[58:59]
	;; [unrolled: 1-line block ×3, first 2 shown]
	s_waitcnt vmcnt(3)
	global_store_dwordx4 v[40:41], v[34:37], off
	s_waitcnt vmcnt(3)
	global_store_dwordx2 v[56:57], v[44:45], off
	global_store_dwordx2 v[56:57], v[46:47], off offset:8
	s_waitcnt vmcnt(4)
	global_store_dwordx4 v[58:59], v[48:51], off
	s_waitcnt vmcnt(4)
	global_store_dwordx4 v[60:61], v[52:55], off
	s_andn2_b64 exec, exec, s[52:53]
	s_cbranch_execnz .LBB15_35
; %bb.36:                               ;   in Loop: Header=BB15_9 Depth=1
	s_or_b64 exec, exec, s[52:53]
	s_mov_b64 s[4:5], 0
                                        ; implicit-def: $vgpr6_vgpr7
	s_and_saveexec_b64 s[52:53], s[2:3]
; %bb.37:                               ;   in Loop: Header=BB15_9 Depth=1
	v_mov_b32_e32 v17, v15
	s_mov_b64 s[4:5], exec
	v_mov_b64_e32 v[6:7], v[16:17]
; %bb.38:                               ;   in Loop: Header=BB15_9 Depth=1
	s_or_b64 exec, exec, s[52:53]
	s_orn2_b64 s[4:5], s[4:5], exec
	v_mov_b32_e32 v8, v16
.LBB15_39:                              ;   in Loop: Header=BB15_9 Depth=1
	s_or_b64 exec, exec, s[50:51]
	s_and_b64 exec, exec, s[4:5]
	s_cbranch_execz .LBB15_42
; %bb.40:                               ;   in Loop: Header=BB15_9 Depth=1
	v_lshlrev_b64 v[6:7], 4, v[6:7]
	s_mov_b64 s[50:51], 0
.LBB15_41:                              ;   Parent Loop BB15_9 Depth=1
                                        ; =>  This Inner Loop Header: Depth=2
	v_lshl_add_u64 v[10:11], v[32:33], 0, v[6:7]
	global_load_dwordx4 v[34:37], v[10:11], off
	v_add_u32_e32 v8, 32, v8
	v_cmp_le_i32_e64 s[4:5], s57, v8
	v_lshl_add_u64 v[10:11], v[18:19], 0, v[6:7]
	v_lshl_add_u64 v[6:7], v[6:7], 0, s[44:45]
	s_or_b64 s[50:51], s[4:5], s[50:51]
	s_waitcnt vmcnt(0)
	global_store_dwordx4 v[10:11], v[34:37], off
	s_andn2_b64 exec, exec, s[50:51]
	s_cbranch_execnz .LBB15_41
.LBB15_42:                              ;   in Loop: Header=BB15_9 Depth=1
	s_or_b64 exec, exec, s[48:49]
.LBB15_43:                              ;   in Loop: Header=BB15_9 Depth=1
	s_or_b64 exec, exec, s[46:47]
	v_lshl_add_u64 v[34:35], v[28:29], 1, s[26:27]
	v_and_b32_e32 v14, 15, v34
	v_cmp_ne_u64_e64 s[4:5], 0, v[14:15]
	v_lshl_add_u64 v[32:33], s[14:15], 0, v[26:27]
	v_lshl_add_u64 v[36:37], v[30:31], 1, s[6:7]
	s_or_b64 s[4:5], s[42:43], s[4:5]
	s_and_saveexec_b64 s[46:47], s[4:5]
	s_xor_b64 s[46:47], exec, s[46:47]
	s_cbranch_execz .LBB15_65
; %bb.44:                               ;   in Loop: Header=BB15_9 Depth=1
	v_sub_u32_e32 v6, 0, v34
	v_bfe_u32 v6, v6, 1, 3
	v_min_i32_e32 v28, s25, v6
	v_cmp_lt_i32_e64 s[4:5], v12, v28
	s_and_saveexec_b64 s[48:49], s[4:5]
	s_cbranch_execz .LBB15_46
; %bb.45:                               ;   in Loop: Header=BB15_9 Depth=1
	v_mov_b32_e32 v25, v15
	v_lshl_add_u64 v[6:7], v[34:35], 0, v[24:25]
	global_load_ushort v8, v[6:7], off
	v_lshl_add_u64 v[6:7], v[36:37], 0, v[24:25]
	s_waitcnt vmcnt(0)
	global_store_short v[6:7], v8, off
.LBB15_46:                              ;   in Loop: Header=BB15_9 Depth=1
	s_or_b64 exec, exec, s[48:49]
	v_sub_u32_e32 v17, s25, v28
	v_ashrrev_i32_e32 v6, 31, v17
	v_lshrrev_b32_e32 v6, 29, v6
	v_ashrrev_i32_e32 v29, 31, v28
	v_add_u32_e32 v6, v17, v6
	v_lshlrev_b64 v[10:11], 1, v[28:29]
	v_ashrrev_i32_e32 v21, 3, v6
	v_lshl_add_u64 v[30:31], v[34:35], 0, v[10:11]
	v_lshl_add_u64 v[34:35], v[36:37], 0, v[10:11]
	v_cmp_lt_i32_e64 s[4:5], v12, v21
	s_and_saveexec_b64 s[48:49], s[4:5]
	s_cbranch_execz .LBB15_56
; %bb.47:                               ;   in Loop: Header=BB15_9 Depth=1
	v_add_u32_e32 v8, v21, v42
	v_cmp_lt_u32_e64 s[4:5], s58, v8
	s_mov_b64 s[52:53], -1
	v_mov_b32_e32 v14, v12
	v_mov_b64_e32 v[6:7], v[12:13]
	s_and_saveexec_b64 s[50:51], s[4:5]
	s_cbranch_execz .LBB15_53
; %bb.48:                               ;   in Loop: Header=BB15_9 Depth=1
	v_lshrrev_b32_e32 v6, 5, v8
	v_add_u32_e32 v36, 1, v6
	v_and_b32_e32 v25, 0xffffffc, v36
	v_mov_b64_e32 v[8:9], v[4:5]
	s_mov_b64 s[52:53], 0
	v_mov_b32_e32 v37, v25
	v_mov_b64_e32 v[6:7], v[2:3]
.LBB15_49:                              ;   Parent Loop BB15_9 Depth=1
                                        ; =>  This Inner Loop Header: Depth=2
	v_mov_b32_e32 v14, v6
	v_lshlrev_b64 v[56:57], 4, v[14:15]
	v_mov_b32_e32 v14, v7
	v_lshlrev_b64 v[58:59], 4, v[14:15]
	;; [unrolled: 2-line block ×4, first 2 shown]
	v_lshl_add_u64 v[38:39], v[30:31], 0, v[56:57]
	v_lshl_add_u64 v[44:45], v[30:31], 0, v[58:59]
	;; [unrolled: 1-line block ×4, first 2 shown]
	global_load_dwordx4 v[38:41], v[38:39], off
	v_add_u32_e32 v37, -4, v37
	global_load_dwordx4 v[44:47], v[44:45], off
	s_nop 0
	global_load_dwordx4 v[48:51], v[48:49], off
	s_nop 0
	global_load_dwordx4 v[52:55], v[52:53], off
	v_cmp_eq_u32_e64 s[4:5], 0, v37
	v_add_u32_e32 v6, 0x80, v6
	v_add_u32_e32 v7, 0x80, v7
	v_lshl_add_u64 v[56:57], v[34:35], 0, v[56:57]
	v_add_u32_e32 v8, 0x80, v8
	s_or_b64 s[52:53], s[4:5], s[52:53]
	v_add_u32_e32 v9, 0x80, v9
	v_lshl_add_u64 v[58:59], v[34:35], 0, v[58:59]
	v_lshl_add_u64 v[60:61], v[34:35], 0, v[60:61]
	;; [unrolled: 1-line block ×3, first 2 shown]
	s_waitcnt vmcnt(3)
	global_store_dwordx4 v[56:57], v[38:41], off
	s_waitcnt vmcnt(3)
	global_store_dwordx2 v[58:59], v[44:45], off
	global_store_dwordx2 v[58:59], v[46:47], off offset:8
	s_waitcnt vmcnt(4)
	global_store_dwordx4 v[60:61], v[48:51], off
	s_waitcnt vmcnt(4)
	global_store_dwordx4 v[62:63], v[52:55], off
	s_andn2_b64 exec, exec, s[52:53]
	s_cbranch_execnz .LBB15_49
; %bb.50:                               ;   in Loop: Header=BB15_9 Depth=1
	s_or_b64 exec, exec, s[52:53]
	v_cmp_ne_u32_e64 s[4:5], v36, v25
	s_mov_b64 s[52:53], 0
                                        ; implicit-def: $vgpr6_vgpr7
	s_and_saveexec_b64 s[54:55], s[4:5]
; %bb.51:                               ;   in Loop: Header=BB15_9 Depth=1
	v_lshl_or_b32 v14, v25, 5, v12
	s_mov_b64 s[52:53], exec
	v_mov_b64_e32 v[6:7], v[14:15]
; %bb.52:                               ;   in Loop: Header=BB15_9 Depth=1
	s_or_b64 exec, exec, s[54:55]
	s_orn2_b64 s[52:53], s[52:53], exec
.LBB15_53:                              ;   in Loop: Header=BB15_9 Depth=1
	s_or_b64 exec, exec, s[50:51]
	s_and_b64 exec, exec, s[52:53]
	s_cbranch_execz .LBB15_56
; %bb.54:                               ;   in Loop: Header=BB15_9 Depth=1
	v_lshl_add_u64 v[8:9], v[6:7], 4, v[10:11]
	v_lshl_add_u64 v[6:7], v[22:23], 0, v[8:9]
	v_lshl_add_u64 v[8:9], v[8:9], 0, v[26:27]
	v_lshl_add_u64 v[8:9], s[38:39], 0, v[8:9]
	s_mov_b64 s[50:51], 0
.LBB15_55:                              ;   Parent Loop BB15_9 Depth=1
                                        ; =>  This Inner Loop Header: Depth=2
	global_load_dwordx4 v[36:39], v[8:9], off offset:-8
	v_add_u32_e32 v14, 32, v14
	v_cmp_ge_i32_e64 s[4:5], v14, v21
	v_lshl_add_u64 v[8:9], v[8:9], 0, s[44:45]
	s_or_b64 s[50:51], s[4:5], s[50:51]
	s_waitcnt vmcnt(0)
	global_store_dwordx4 v[6:7], v[36:39], off
	v_lshl_add_u64 v[6:7], v[6:7], 0, s[44:45]
	s_andn2_b64 exec, exec, s[50:51]
	s_cbranch_execnz .LBB15_55
.LBB15_56:                              ;   in Loop: Header=BB15_9 Depth=1
	s_or_b64 exec, exec, s[48:49]
	v_lshlrev_b32_e32 v7, 3, v21
	v_add_u32_e32 v6, v7, v12
	v_cmp_lt_i32_e64 s[4:5], v6, v17
	s_and_saveexec_b64 s[48:49], s[4:5]
	s_cbranch_execz .LBB15_64
; %bb.57:                               ;   in Loop: Header=BB15_9 Depth=1
	v_add_u32_e32 v8, v3, v7
	v_max_i32_e32 v8, v8, v17
	v_add_u32_e32 v8, v8, v42
	v_sub_u32_e32 v7, v8, v7
	v_cmp_lt_u32_e64 s[4:5], s58, v7
	s_mov_b64 s[52:53], -1
	s_and_saveexec_b64 s[50:51], s[4:5]
	s_cbranch_execz .LBB15_61
; %bb.58:                               ;   in Loop: Header=BB15_9 Depth=1
	v_lshrrev_b32_e32 v7, 5, v7
	v_add_u32_e32 v14, 1, v7
	v_add_u32_e32 v9, 0x60, v6
	;; [unrolled: 1-line block ×3, first 2 shown]
	v_and_b32_e32 v21, 0xffffffc, v14
	v_add_u32_e32 v7, 32, v6
	v_mov_b64_e32 v[10:11], v[8:9]
	s_mov_b64 s[52:53], 0
	v_mov_b32_e32 v25, v21
	v_mov_b64_e32 v[8:9], v[6:7]
.LBB15_59:                              ;   Parent Loop BB15_9 Depth=1
                                        ; =>  This Inner Loop Header: Depth=2
	v_ashrrev_i32_e32 v39, 31, v9
	v_mov_b32_e32 v38, v9
	v_ashrrev_i32_e32 v41, 31, v8
	v_mov_b32_e32 v40, v8
	;; [unrolled: 2-line block ×4, first 2 shown]
	v_lshlrev_b64 v[40:41], 1, v[40:41]
	v_lshlrev_b64 v[38:39], 1, v[38:39]
	;; [unrolled: 1-line block ×4, first 2 shown]
	v_lshl_add_u64 v[44:45], v[30:31], 0, v[40:41]
	v_lshl_add_u64 v[46:47], v[30:31], 0, v[38:39]
	;; [unrolled: 1-line block ×4, first 2 shown]
	global_load_ushort v7, v[44:45], off
	s_nop 0
	global_load_ushort v44, v[46:47], off
	global_load_ushort v45, v[48:49], off
	s_nop 0
	global_load_ushort v46, v[50:51], off
	v_add_u32_e32 v25, -4, v25
	v_cmp_eq_u32_e64 s[4:5], 0, v25
	v_add_u32_e32 v11, 0x80, v11
	v_add_u32_e32 v10, 0x80, v10
	v_add_u32_e32 v9, 0x80, v9
	v_add_u32_e32 v8, 0x80, v8
	v_lshl_add_u64 v[40:41], v[34:35], 0, v[40:41]
	s_or_b64 s[52:53], s[4:5], s[52:53]
	v_lshl_add_u64 v[38:39], v[34:35], 0, v[38:39]
	v_lshl_add_u64 v[36:37], v[34:35], 0, v[36:37]
	;; [unrolled: 1-line block ×3, first 2 shown]
	s_waitcnt vmcnt(3)
	global_store_short v[40:41], v7, off
	s_waitcnt vmcnt(3)
	global_store_short v[38:39], v44, off
	;; [unrolled: 2-line block ×4, first 2 shown]
	s_andn2_b64 exec, exec, s[52:53]
	s_cbranch_execnz .LBB15_59
; %bb.60:                               ;   in Loop: Header=BB15_9 Depth=1
	s_or_b64 exec, exec, s[52:53]
	v_cmp_ne_u32_e64 s[4:5], v14, v21
	v_lshl_add_u32 v6, v21, 5, v6
	s_orn2_b64 s[52:53], s[4:5], exec
.LBB15_61:                              ;   in Loop: Header=BB15_9 Depth=1
	s_or_b64 exec, exec, s[50:51]
	s_and_b64 exec, exec, s[52:53]
	s_cbranch_execz .LBB15_64
; %bb.62:                               ;   in Loop: Header=BB15_9 Depth=1
	v_ashrrev_i32_e32 v7, 31, v6
	v_lshlrev_b64 v[8:9], 1, v[6:7]
	v_lshl_add_u64 v[8:9], v[28:29], 1, v[8:9]
	s_mov_b64 s[50:51], 0
.LBB15_63:                              ;   Parent Loop BB15_9 Depth=1
                                        ; =>  This Inner Loop Header: Depth=2
	v_lshl_add_u64 v[10:11], v[32:33], 0, v[8:9]
	global_load_ushort v7, v[10:11], off
	v_add_u32_e32 v6, 32, v6
	v_cmp_ge_i32_e64 s[4:5], v6, v17
	v_lshl_add_u64 v[10:11], v[22:23], 0, v[8:9]
	v_lshl_add_u64 v[8:9], v[8:9], 0, 64
	s_or_b64 s[50:51], s[4:5], s[50:51]
	s_waitcnt vmcnt(0)
	global_store_short v[10:11], v7, off
	s_andn2_b64 exec, exec, s[50:51]
	s_cbranch_execnz .LBB15_63
.LBB15_64:                              ;   in Loop: Header=BB15_9 Depth=1
	s_or_b64 exec, exec, s[48:49]
                                        ; implicit-def: $vgpr32_vgpr33
                                        ; implicit-def: $vgpr34_vgpr35
                                        ; implicit-def: $vgpr36_vgpr37
.LBB15_65:                              ;   in Loop: Header=BB15_9 Depth=1
	s_andn2_saveexec_b64 s[46:47], s[46:47]
	s_cbranch_execz .LBB15_8
; %bb.66:                               ;   in Loop: Header=BB15_9 Depth=1
	s_and_saveexec_b64 s[48:49], vcc
	s_cbranch_execz .LBB15_7
; %bb.67:                               ;   in Loop: Header=BB15_9 Depth=1
	s_mov_b64 s[4:5], -1
	v_mov_b32_e32 v8, v12
	v_mov_b64_e32 v[6:7], v[12:13]
	s_and_saveexec_b64 s[50:51], s[0:1]
	s_cbranch_execz .LBB15_73
; %bb.68:                               ;   in Loop: Header=BB15_9 Depth=1
	v_mov_b64_e32 v[8:9], v[4:5]
	s_mov_b64 s[52:53], 0
	v_mov_b32_e32 v10, v43
	v_mov_b64_e32 v[6:7], v[2:3]
.LBB15_69:                              ;   Parent Loop BB15_9 Depth=1
                                        ; =>  This Inner Loop Header: Depth=2
	v_mov_b32_e32 v14, v6
	v_lshlrev_b64 v[30:31], 4, v[14:15]
	v_mov_b32_e32 v14, v7
	v_lshlrev_b64 v[52:53], 4, v[14:15]
	;; [unrolled: 2-line block ×4, first 2 shown]
	v_lshl_add_u64 v[26:27], v[34:35], 0, v[30:31]
	v_lshl_add_u64 v[38:39], v[34:35], 0, v[52:53]
	;; [unrolled: 1-line block ×4, first 2 shown]
	global_load_dwordx4 v[26:29], v[26:27], off
	v_add_u32_e32 v10, -4, v10
	global_load_dwordx4 v[38:41], v[38:39], off
	s_nop 0
	global_load_dwordx4 v[44:47], v[44:45], off
	s_nop 0
	global_load_dwordx4 v[48:51], v[48:49], off
	v_cmp_eq_u32_e64 s[4:5], 0, v10
	v_add_u32_e32 v6, 0x80, v6
	v_add_u32_e32 v7, 0x80, v7
	v_lshl_add_u64 v[30:31], v[36:37], 0, v[30:31]
	v_add_u32_e32 v8, 0x80, v8
	s_or_b64 s[52:53], s[4:5], s[52:53]
	v_add_u32_e32 v9, 0x80, v9
	v_lshl_add_u64 v[52:53], v[36:37], 0, v[52:53]
	v_lshl_add_u64 v[54:55], v[36:37], 0, v[54:55]
	;; [unrolled: 1-line block ×3, first 2 shown]
	s_waitcnt vmcnt(3)
	global_store_dwordx4 v[30:31], v[26:29], off
	s_waitcnt vmcnt(3)
	global_store_dwordx2 v[52:53], v[38:39], off
	global_store_dwordx2 v[52:53], v[40:41], off offset:8
	s_waitcnt vmcnt(4)
	global_store_dwordx4 v[54:55], v[44:47], off
	s_waitcnt vmcnt(4)
	global_store_dwordx4 v[56:57], v[48:51], off
	s_andn2_b64 exec, exec, s[52:53]
	s_cbranch_execnz .LBB15_69
; %bb.70:                               ;   in Loop: Header=BB15_9 Depth=1
	s_or_b64 exec, exec, s[52:53]
	s_mov_b64 s[4:5], 0
                                        ; implicit-def: $vgpr6_vgpr7
	s_and_saveexec_b64 s[52:53], s[2:3]
; %bb.71:                               ;   in Loop: Header=BB15_9 Depth=1
	v_mov_b32_e32 v17, v15
	s_mov_b64 s[4:5], exec
	v_mov_b64_e32 v[6:7], v[16:17]
; %bb.72:                               ;   in Loop: Header=BB15_9 Depth=1
	s_or_b64 exec, exec, s[52:53]
	s_orn2_b64 s[4:5], s[4:5], exec
	v_mov_b32_e32 v8, v16
.LBB15_73:                              ;   in Loop: Header=BB15_9 Depth=1
	s_or_b64 exec, exec, s[50:51]
	s_and_b64 exec, exec, s[4:5]
	s_cbranch_execz .LBB15_7
; %bb.74:                               ;   in Loop: Header=BB15_9 Depth=1
	v_lshlrev_b64 v[6:7], 4, v[6:7]
	s_mov_b64 s[50:51], 0
.LBB15_75:                              ;   Parent Loop BB15_9 Depth=1
                                        ; =>  This Inner Loop Header: Depth=2
	v_lshl_add_u64 v[10:11], v[32:33], 0, v[6:7]
	global_load_dwordx4 v[26:29], v[10:11], off
	v_add_u32_e32 v8, 32, v8
	v_cmp_le_i32_e64 s[4:5], s57, v8
	v_lshl_add_u64 v[10:11], v[22:23], 0, v[6:7]
	v_lshl_add_u64 v[6:7], v[6:7], 0, s[44:45]
	s_or_b64 s[50:51], s[4:5], s[50:51]
	s_waitcnt vmcnt(0)
	global_store_dwordx4 v[10:11], v[26:29], off
	s_andn2_b64 exec, exec, s[50:51]
	s_cbranch_execnz .LBB15_75
	s_branch .LBB15_7
.LBB15_76:
	s_or_b64 exec, exec, s[18:19]
	s_mov_b64 s[0:1], 0
.LBB15_77:
	s_andn2_b64 vcc, exec, s[0:1]
	s_cbranch_vccnz .LBB15_139
; %bb.78:
	s_and_b32 s0, s30, 15
	s_mov_b32 s1, 0
	s_mul_i32 s34, s25, s24
	s_cmp_lg_u64 s[0:1], 0
	s_cselect_b64 s[2:3], -1, 0
	s_and_b32 s4, s34, 7
	s_cmp_eq_u32 s4, 0
	s_cselect_b64 s[0:1], -1, 0
	s_cmp_lg_u32 s4, 0
	s_cselect_b64 s[4:5], -1, 0
	s_or_b64 s[4:5], s[2:3], s[4:5]
	s_mov_b64 s[2:3], -1
	s_and_b64 vcc, exec, s[4:5]
	s_cbranch_vccz .LBB15_99
; %bb.79:
	s_sub_i32 s2, 0, s30
	s_bfe_u32 s2, s2, 0x30001
	s_min_i32 s2, s2, s34
	v_cmp_gt_i32_e32 vcc, s2, v0
	s_and_saveexec_b64 s[4:5], vcc
	s_cbranch_execz .LBB15_82
; %bb.80:
	v_lshlrev_b32_e32 v2, 1, v0
	s_mov_b32 s13, 0
	v_mov_b32_e32 v3, 0
	s_lshl_b32 s12, s33, 1
	s_mov_b64 s[14:15], 0
	v_mov_b32_e32 v1, v0
.LBB15_81:                              ; =>This Inner Loop Header: Depth=1
	v_lshl_add_u64 v[4:5], s[30:31], 0, v[2:3]
	global_load_ushort v6, v[4:5], off
	v_add_u32_e32 v1, s33, v1
	v_cmp_le_i32_e32 vcc, s2, v1
	v_lshl_add_u64 v[4:5], s[16:17], 0, v[2:3]
	v_lshl_add_u64 v[2:3], v[2:3], 0, s[12:13]
	s_or_b64 s[14:15], vcc, s[14:15]
	s_waitcnt vmcnt(0)
	global_store_short v[4:5], v6, off
	s_andn2_b64 exec, exec, s[14:15]
	s_cbranch_execnz .LBB15_81
.LBB15_82:
	s_or_b64 exec, exec, s[4:5]
	s_ashr_i32 s3, s2, 31
	s_lshl_b64 s[18:19], s[2:3], 1
	s_add_u32 s4, s30, s18
	s_addc_u32 s5, s31, s19
	s_add_u32 s12, s16, s18
	s_addc_u32 s13, s17, s19
	s_sub_i32 s35, s34, s2
	s_ashr_i32 s14, s35, 31
	s_lshr_b32 s14, s14, 29
	s_add_i32 s14, s35, s14
	s_ashr_i32 s36, s14, 3
	v_cmp_gt_i32_e32 vcc, s36, v0
	s_and_saveexec_b64 s[14:15], vcc
	s_cbranch_execz .LBB15_90
; %bb.83:
	v_add_u32_e32 v1, 1, v0
	v_max_i32_e32 v2, s36, v1
	s_and_b32 s20, s33, 0xffff
	v_sub_u32_e32 v8, v2, v0
	s_cmp_eq_u32 s20, 1
	v_cmp_lt_u32_e32 vcc, 3, v8
	s_cselect_b64 s[20:21], -1, 0
	s_and_b64 s[38:39], vcc, s[20:21]
	s_mov_b64 s[24:25], -1
	v_mov_b32_e32 v2, v0
	s_and_saveexec_b64 s[20:21], s[38:39]
	s_cbranch_execz .LBB15_87
; %bb.84:
	v_add_u32_e32 v3, 3, v0
	v_add_u32_e32 v2, 2, v0
	v_and_b32_e32 v9, -4, v8
	v_mov_b64_e32 v[4:5], v[2:3]
	s_mov_b64 s[24:25], 0
	v_mov_b32_e32 v7, 0
	v_mov_b32_e32 v10, v9
	v_mov_b64_e32 v[2:3], v[0:1]
.LBB15_85:                              ; =>This Inner Loop Header: Depth=1
	v_mov_b32_e32 v6, v2
	v_lshlrev_b64 v[28:29], 4, v[6:7]
	v_mov_b32_e32 v6, v3
	v_lshlrev_b64 v[30:31], 4, v[6:7]
	;; [unrolled: 2-line block ×3, first 2 shown]
	v_mov_b32_e32 v6, v5
	v_lshl_add_u64 v[12:13], s[4:5], 0, v[28:29]
	v_lshl_add_u64 v[16:17], s[4:5], 0, v[30:31]
	;; [unrolled: 1-line block ×3, first 2 shown]
	v_lshlrev_b64 v[36:37], 4, v[6:7]
	global_load_dwordx4 v[12:15], v[12:13], off
	v_lshl_add_u64 v[38:39], s[4:5], 0, v[36:37]
	global_load_dwordx4 v[16:19], v[16:17], off
	s_nop 0
	global_load_dwordx4 v[20:23], v[34:35], off
	global_load_dwordx4 v[24:27], v[38:39], off
	v_add_u32_e32 v10, -4, v10
	v_cmp_eq_u32_e32 vcc, 0, v10
	v_add_u32_e32 v2, 4, v2
	v_add_u32_e32 v3, 4, v3
	v_lshl_add_u64 v[28:29], s[12:13], 0, v[28:29]
	v_add_u32_e32 v4, 4, v4
	s_or_b64 s[24:25], vcc, s[24:25]
	v_add_u32_e32 v5, 4, v5
	v_lshl_add_u64 v[30:31], s[12:13], 0, v[30:31]
	v_lshl_add_u64 v[32:33], s[12:13], 0, v[32:33]
	;; [unrolled: 1-line block ×3, first 2 shown]
	s_waitcnt vmcnt(3)
	global_store_dwordx4 v[28:29], v[12:15], off
	s_waitcnt vmcnt(3)
	global_store_dwordx2 v[30:31], v[16:17], off
	global_store_dwordx2 v[30:31], v[18:19], off offset:8
	s_waitcnt vmcnt(4)
	global_store_dwordx4 v[32:33], v[20:23], off
	s_waitcnt vmcnt(4)
	global_store_dwordx4 v[34:35], v[24:27], off
	s_andn2_b64 exec, exec, s[24:25]
	s_cbranch_execnz .LBB15_85
; %bb.86:
	s_or_b64 exec, exec, s[24:25]
	v_cmp_ne_u32_e32 vcc, v8, v9
	v_add_u32_e32 v2, v0, v9
	s_orn2_b64 s[24:25], vcc, exec
.LBB15_87:
	s_or_b64 exec, exec, s[20:21]
	s_and_b64 exec, exec, s[24:25]
	s_cbranch_execz .LBB15_90
; %bb.88:
	v_mov_b32_e32 v3, 0
	s_lshl_b32 s20, s33, 4
	v_lshl_add_u64 v[4:5], v[2:3], 4, s[18:19]
	s_add_u32 s18, s8, s28
	s_addc_u32 s19, s9, s29
	s_add_u32 s18, s18, 8
	s_mov_b32 s21, 0
	s_addc_u32 s19, s19, 0
	s_mov_b64 s[24:25], 0
.LBB15_89:                              ; =>This Inner Loop Header: Depth=1
	v_lshl_add_u64 v[6:7], s[18:19], 0, v[4:5]
	global_load_dwordx4 v[6:9], v[6:7], off offset:-8
	v_add_u32_e32 v2, s33, v2
	v_cmp_le_i32_e32 vcc, s36, v2
	v_lshl_add_u64 v[10:11], s[16:17], 0, v[4:5]
	v_lshl_add_u64 v[4:5], v[4:5], 0, s[20:21]
	s_or_b64 s[24:25], vcc, s[24:25]
	s_waitcnt vmcnt(0)
	global_store_dwordx4 v[10:11], v[6:9], off
	s_andn2_b64 exec, exec, s[24:25]
	s_cbranch_execnz .LBB15_89
.LBB15_90:
	s_or_b64 exec, exec, s[14:15]
	v_lshl_add_u32 v2, s36, 3, v0
	v_cmp_gt_i32_e32 vcc, s35, v2
	s_and_saveexec_b64 s[14:15], vcc
	s_cbranch_execz .LBB15_98
; %bb.91:
	v_add_u32_e32 v1, 1, v2
	v_max_i32_e32 v1, s35, v1
	s_and_b32 s18, s33, 0xffff
	v_sub_u32_e32 v1, v1, v2
	s_cmp_eq_u32 s18, 1
	v_cmp_lt_u32_e32 vcc, 7, v1
	s_cselect_b64 s[18:19], -1, 0
	s_and_b64 s[24:25], vcc, s[18:19]
	s_mov_b64 s[20:21], -1
	s_and_saveexec_b64 s[18:19], s[24:25]
	s_cbranch_execz .LBB15_95
; %bb.92:
	v_and_b32_e32 v3, -8, v1
	s_mov_b64 s[20:21], 0
	v_mov_b32_e32 v4, v2
	v_mov_b32_e32 v6, v3
.LBB15_93:                              ; =>This Inner Loop Header: Depth=1
	v_ashrrev_i32_e32 v5, 31, v4
	v_lshlrev_b64 v[12:13], 1, v[4:5]
	v_lshl_add_u64 v[8:9], s[4:5], 0, v[12:13]
	global_load_dwordx4 v[8:11], v[8:9], off
	v_add_u32_e32 v6, -8, v6
	v_cmp_eq_u32_e32 vcc, 0, v6
	v_lshl_add_u64 v[12:13], s[12:13], 0, v[12:13]
	s_or_b64 s[20:21], vcc, s[20:21]
	v_add_u32_e32 v4, 8, v4
	s_waitcnt vmcnt(0)
	global_store_dwordx4 v[12:13], v[8:11], off
	s_andn2_b64 exec, exec, s[20:21]
	s_cbranch_execnz .LBB15_93
; %bb.94:
	s_or_b64 exec, exec, s[20:21]
	v_cmp_ne_u32_e32 vcc, v1, v3
	v_add_u32_e32 v2, v2, v3
	s_orn2_b64 s[20:21], vcc, exec
.LBB15_95:
	s_or_b64 exec, exec, s[18:19]
	s_and_b64 exec, exec, s[20:21]
	s_cbranch_execz .LBB15_98
; %bb.96:
	v_ashrrev_i32_e32 v3, 31, v2
	v_lshlrev_b64 v[4:5], 1, v[2:3]
	v_lshl_add_u64 v[4:5], s[2:3], 1, v[4:5]
	s_lshl_b32 s2, s33, 1
	s_mov_b32 s3, 0
	s_mov_b64 s[4:5], 0
.LBB15_97:                              ; =>This Inner Loop Header: Depth=1
	v_lshl_add_u64 v[6:7], s[30:31], 0, v[4:5]
	global_load_ushort v1, v[6:7], off
	v_add_u32_e32 v2, s33, v2
	v_cmp_le_i32_e32 vcc, s35, v2
	v_lshl_add_u64 v[6:7], s[16:17], 0, v[4:5]
	v_lshl_add_u64 v[4:5], v[4:5], 0, s[2:3]
	s_or_b64 s[4:5], vcc, s[4:5]
	s_waitcnt vmcnt(0)
	global_store_short v[6:7], v1, off
	s_andn2_b64 exec, exec, s[4:5]
	s_cbranch_execnz .LBB15_97
.LBB15_98:
	s_or_b64 exec, exec, s[14:15]
	s_mov_b64 s[2:3], 0
.LBB15_99:
	s_and_b64 vcc, exec, s[2:3]
	s_cbranch_vccz .LBB15_109
; %bb.100:
	s_ashr_i32 s14, s34, 3
	v_cmp_gt_i32_e32 vcc, s14, v0
	s_and_saveexec_b64 s[2:3], vcc
	s_cbranch_execz .LBB15_108
; %bb.101:
	v_add_u32_e32 v1, 1, v0
	v_max_i32_e32 v2, s14, v1
	s_and_b32 s4, s33, 0xffff
	v_sub_u32_e32 v8, v2, v0
	s_cmp_eq_u32 s4, 1
	v_cmp_lt_u32_e32 vcc, 3, v8
	s_cselect_b64 s[4:5], -1, 0
	s_and_b64 s[18:19], vcc, s[4:5]
	s_mov_b64 s[12:13], -1
	v_mov_b32_e32 v2, v0
	s_and_saveexec_b64 s[4:5], s[18:19]
	s_cbranch_execz .LBB15_105
; %bb.102:
	v_add_u32_e32 v3, 3, v0
	v_add_u32_e32 v2, 2, v0
	v_and_b32_e32 v9, -4, v8
	v_mov_b64_e32 v[4:5], v[2:3]
	s_mov_b64 s[12:13], 0
	v_mov_b32_e32 v7, 0
	v_mov_b32_e32 v10, v9
	v_mov_b64_e32 v[2:3], v[0:1]
.LBB15_103:                             ; =>This Inner Loop Header: Depth=1
	v_mov_b32_e32 v6, v2
	v_lshlrev_b64 v[28:29], 4, v[6:7]
	v_mov_b32_e32 v6, v3
	v_lshlrev_b64 v[30:31], 4, v[6:7]
	;; [unrolled: 2-line block ×3, first 2 shown]
	v_mov_b32_e32 v6, v5
	v_lshl_add_u64 v[12:13], s[30:31], 0, v[28:29]
	v_lshl_add_u64 v[16:17], s[30:31], 0, v[30:31]
	;; [unrolled: 1-line block ×3, first 2 shown]
	v_lshlrev_b64 v[36:37], 4, v[6:7]
	global_load_dwordx4 v[12:15], v[12:13], off
	v_lshl_add_u64 v[38:39], s[30:31], 0, v[36:37]
	global_load_dwordx4 v[16:19], v[16:17], off
	s_nop 0
	global_load_dwordx4 v[20:23], v[34:35], off
	global_load_dwordx4 v[24:27], v[38:39], off
	v_add_u32_e32 v10, -4, v10
	v_cmp_eq_u32_e32 vcc, 0, v10
	v_add_u32_e32 v2, 4, v2
	v_add_u32_e32 v3, 4, v3
	v_lshl_add_u64 v[28:29], s[16:17], 0, v[28:29]
	v_add_u32_e32 v4, 4, v4
	s_or_b64 s[12:13], vcc, s[12:13]
	v_add_u32_e32 v5, 4, v5
	v_lshl_add_u64 v[30:31], s[16:17], 0, v[30:31]
	v_lshl_add_u64 v[32:33], s[16:17], 0, v[32:33]
	v_lshl_add_u64 v[34:35], s[16:17], 0, v[36:37]
	s_waitcnt vmcnt(3)
	global_store_dwordx4 v[28:29], v[12:15], off
	s_waitcnt vmcnt(3)
	global_store_dwordx2 v[30:31], v[16:17], off
	global_store_dwordx2 v[30:31], v[18:19], off offset:8
	s_waitcnt vmcnt(4)
	global_store_dwordx4 v[32:33], v[20:23], off
	s_waitcnt vmcnt(4)
	global_store_dwordx4 v[34:35], v[24:27], off
	s_andn2_b64 exec, exec, s[12:13]
	s_cbranch_execnz .LBB15_103
; %bb.104:
	s_or_b64 exec, exec, s[12:13]
	v_cmp_ne_u32_e32 vcc, v8, v9
	v_add_u32_e32 v2, v0, v9
	s_orn2_b64 s[12:13], vcc, exec
.LBB15_105:
	s_or_b64 exec, exec, s[4:5]
	s_and_b64 exec, exec, s[12:13]
	s_cbranch_execz .LBB15_108
; %bb.106:
	s_lshl_b32 s4, s33, 4
	s_add_u32 s8, s8, s28
	s_addc_u32 s9, s9, s29
	v_mov_b32_e32 v3, 0
	s_add_u32 s8, s8, 8
	s_mov_b32 s5, 0
	v_lshlrev_b64 v[4:5], 4, v[2:3]
	s_addc_u32 s9, s9, 0
	s_mov_b64 s[12:13], 0
.LBB15_107:                             ; =>This Inner Loop Header: Depth=1
	v_lshl_add_u64 v[6:7], s[8:9], 0, v[4:5]
	global_load_dwordx4 v[6:9], v[6:7], off offset:-8
	v_add_u32_e32 v2, s33, v2
	v_cmp_le_i32_e32 vcc, s14, v2
	v_lshl_add_u64 v[10:11], s[16:17], 0, v[4:5]
	v_lshl_add_u64 v[4:5], v[4:5], 0, s[4:5]
	s_or_b64 s[12:13], vcc, s[12:13]
	s_waitcnt vmcnt(0)
	global_store_dwordx4 v[10:11], v[6:9], off
	s_andn2_b64 exec, exec, s[12:13]
	s_cbranch_execnz .LBB15_107
.LBB15_108:
	s_or_b64 exec, exec, s[2:3]
.LBB15_109:
	s_and_b32 s2, s26, 15
	s_mov_b32 s3, 0
	s_cmp_lg_u64 s[2:3], 0
	s_cselect_b64 s[4:5], -1, 0
	s_xor_b64 s[0:1], s[0:1], -1
	s_or_b64 s[0:1], s[0:1], s[4:5]
	s_mov_b64 s[2:3], -1
	s_and_b64 vcc, exec, s[0:1]
	s_cbranch_vccz .LBB15_130
; %bb.110:
	s_sub_i32 s0, 0, s26
	s_bfe_u32 s0, s0, 0x30001
	s_min_i32 s0, s0, s34
	v_cmp_gt_i32_e32 vcc, s0, v0
	s_and_saveexec_b64 s[2:3], vcc
	s_cbranch_execz .LBB15_113
; %bb.111:
	v_lshlrev_b32_e32 v2, 1, v0
	s_mov_b32 s5, 0
	v_mov_b32_e32 v3, 0
	s_lshl_b32 s4, s33, 1
	s_mov_b64 s[8:9], 0
	v_mov_b32_e32 v1, v0
.LBB15_112:                             ; =>This Inner Loop Header: Depth=1
	v_lshl_add_u64 v[4:5], s[26:27], 0, v[2:3]
	global_load_ushort v6, v[4:5], off
	v_add_u32_e32 v1, s33, v1
	v_cmp_le_i32_e32 vcc, s0, v1
	v_lshl_add_u64 v[4:5], s[6:7], 0, v[2:3]
	v_lshl_add_u64 v[2:3], v[2:3], 0, s[4:5]
	s_or_b64 s[8:9], vcc, s[8:9]
	s_waitcnt vmcnt(0)
	global_store_short v[4:5], v6, off
	s_andn2_b64 exec, exec, s[8:9]
	s_cbranch_execnz .LBB15_112
.LBB15_113:
	s_or_b64 exec, exec, s[2:3]
	s_ashr_i32 s1, s0, 31
	s_lshl_b64 s[12:13], s[0:1], 1
	s_add_u32 s2, s26, s12
	s_addc_u32 s3, s27, s13
	s_add_u32 s4, s6, s12
	s_addc_u32 s5, s7, s13
	s_sub_i32 s18, s34, s0
	s_ashr_i32 s8, s18, 31
	s_lshr_b32 s8, s8, 29
	s_add_i32 s8, s18, s8
	s_ashr_i32 s19, s8, 3
	v_cmp_gt_i32_e32 vcc, s19, v0
	s_and_saveexec_b64 s[8:9], vcc
	s_cbranch_execz .LBB15_121
; %bb.114:
	v_add_u32_e32 v1, 1, v0
	v_max_i32_e32 v2, s19, v1
	s_and_b32 s14, s33, 0xffff
	v_sub_u32_e32 v8, v2, v0
	s_cmp_eq_u32 s14, 1
	v_cmp_lt_u32_e32 vcc, 3, v8
	s_cselect_b64 s[14:15], -1, 0
	s_and_b64 s[20:21], vcc, s[14:15]
	s_mov_b64 s[16:17], -1
	v_mov_b32_e32 v2, v0
	s_and_saveexec_b64 s[14:15], s[20:21]
	s_cbranch_execz .LBB15_118
; %bb.115:
	v_add_u32_e32 v3, 3, v0
	v_add_u32_e32 v2, 2, v0
	v_and_b32_e32 v9, -4, v8
	v_mov_b64_e32 v[4:5], v[2:3]
	s_mov_b64 s[16:17], 0
	v_mov_b32_e32 v7, 0
	v_mov_b32_e32 v10, v9
	v_mov_b64_e32 v[2:3], v[0:1]
.LBB15_116:                             ; =>This Inner Loop Header: Depth=1
	v_mov_b32_e32 v6, v2
	v_lshlrev_b64 v[28:29], 4, v[6:7]
	v_mov_b32_e32 v6, v3
	v_lshlrev_b64 v[30:31], 4, v[6:7]
	;; [unrolled: 2-line block ×3, first 2 shown]
	v_mov_b32_e32 v6, v5
	v_lshl_add_u64 v[12:13], s[2:3], 0, v[28:29]
	v_lshl_add_u64 v[16:17], s[2:3], 0, v[30:31]
	;; [unrolled: 1-line block ×3, first 2 shown]
	v_lshlrev_b64 v[36:37], 4, v[6:7]
	global_load_dwordx4 v[12:15], v[12:13], off
	v_lshl_add_u64 v[38:39], s[2:3], 0, v[36:37]
	global_load_dwordx4 v[16:19], v[16:17], off
	s_nop 0
	global_load_dwordx4 v[20:23], v[34:35], off
	global_load_dwordx4 v[24:27], v[38:39], off
	v_add_u32_e32 v10, -4, v10
	v_cmp_eq_u32_e32 vcc, 0, v10
	v_add_u32_e32 v2, 4, v2
	v_add_u32_e32 v3, 4, v3
	v_lshl_add_u64 v[28:29], s[4:5], 0, v[28:29]
	v_add_u32_e32 v4, 4, v4
	s_or_b64 s[16:17], vcc, s[16:17]
	v_add_u32_e32 v5, 4, v5
	v_lshl_add_u64 v[30:31], s[4:5], 0, v[30:31]
	v_lshl_add_u64 v[32:33], s[4:5], 0, v[32:33]
	;; [unrolled: 1-line block ×3, first 2 shown]
	s_waitcnt vmcnt(3)
	global_store_dwordx4 v[28:29], v[12:15], off
	s_waitcnt vmcnt(3)
	global_store_dwordx2 v[30:31], v[16:17], off
	global_store_dwordx2 v[30:31], v[18:19], off offset:8
	s_waitcnt vmcnt(4)
	global_store_dwordx4 v[32:33], v[20:23], off
	s_waitcnt vmcnt(4)
	global_store_dwordx4 v[34:35], v[24:27], off
	s_andn2_b64 exec, exec, s[16:17]
	s_cbranch_execnz .LBB15_116
; %bb.117:
	s_or_b64 exec, exec, s[16:17]
	v_cmp_ne_u32_e32 vcc, v8, v9
	v_add_u32_e32 v2, v0, v9
	s_orn2_b64 s[16:17], vcc, exec
.LBB15_118:
	s_or_b64 exec, exec, s[14:15]
	s_and_b64 exec, exec, s[16:17]
	s_cbranch_execz .LBB15_121
; %bb.119:
	v_mov_b32_e32 v3, 0
	s_lshl_b32 s14, s33, 4
	v_lshl_add_u64 v[4:5], v[2:3], 4, s[12:13]
	s_add_u32 s12, s10, s22
	s_addc_u32 s13, s11, s23
	s_add_u32 s12, s12, 8
	s_mov_b32 s15, 0
	s_addc_u32 s13, s13, 0
	s_mov_b64 s[16:17], 0
.LBB15_120:                             ; =>This Inner Loop Header: Depth=1
	v_lshl_add_u64 v[6:7], s[12:13], 0, v[4:5]
	global_load_dwordx4 v[6:9], v[6:7], off offset:-8
	v_add_u32_e32 v2, s33, v2
	v_cmp_le_i32_e32 vcc, s19, v2
	v_lshl_add_u64 v[10:11], s[6:7], 0, v[4:5]
	v_lshl_add_u64 v[4:5], v[4:5], 0, s[14:15]
	s_or_b64 s[16:17], vcc, s[16:17]
	s_waitcnt vmcnt(0)
	global_store_dwordx4 v[10:11], v[6:9], off
	s_andn2_b64 exec, exec, s[16:17]
	s_cbranch_execnz .LBB15_120
.LBB15_121:
	s_or_b64 exec, exec, s[8:9]
	v_lshl_add_u32 v2, s19, 3, v0
	v_cmp_gt_i32_e32 vcc, s18, v2
	s_and_saveexec_b64 s[8:9], vcc
	s_cbranch_execz .LBB15_129
; %bb.122:
	v_add_u32_e32 v1, 1, v2
	v_max_i32_e32 v1, s18, v1
	s_and_b32 s12, s33, 0xffff
	v_sub_u32_e32 v1, v1, v2
	s_cmp_eq_u32 s12, 1
	v_cmp_lt_u32_e32 vcc, 7, v1
	s_cselect_b64 s[12:13], -1, 0
	s_and_b64 s[16:17], vcc, s[12:13]
	s_mov_b64 s[14:15], -1
	s_and_saveexec_b64 s[12:13], s[16:17]
	s_cbranch_execz .LBB15_126
; %bb.123:
	v_and_b32_e32 v3, -8, v1
	s_mov_b64 s[14:15], 0
	v_mov_b32_e32 v4, v2
	v_mov_b32_e32 v6, v3
.LBB15_124:                             ; =>This Inner Loop Header: Depth=1
	v_ashrrev_i32_e32 v5, 31, v4
	v_lshlrev_b64 v[12:13], 1, v[4:5]
	v_lshl_add_u64 v[8:9], s[2:3], 0, v[12:13]
	global_load_dwordx4 v[8:11], v[8:9], off
	v_add_u32_e32 v6, -8, v6
	v_cmp_eq_u32_e32 vcc, 0, v6
	v_lshl_add_u64 v[12:13], s[4:5], 0, v[12:13]
	s_or_b64 s[14:15], vcc, s[14:15]
	v_add_u32_e32 v4, 8, v4
	s_waitcnt vmcnt(0)
	global_store_dwordx4 v[12:13], v[8:11], off
	s_andn2_b64 exec, exec, s[14:15]
	s_cbranch_execnz .LBB15_124
; %bb.125:
	s_or_b64 exec, exec, s[14:15]
	v_cmp_ne_u32_e32 vcc, v1, v3
	v_add_u32_e32 v2, v2, v3
	s_orn2_b64 s[14:15], vcc, exec
.LBB15_126:
	s_or_b64 exec, exec, s[12:13]
	s_and_b64 exec, exec, s[14:15]
	s_cbranch_execz .LBB15_129
; %bb.127:
	v_ashrrev_i32_e32 v3, 31, v2
	v_lshlrev_b64 v[4:5], 1, v[2:3]
	v_lshl_add_u64 v[4:5], s[0:1], 1, v[4:5]
	s_lshl_b32 s0, s33, 1
	s_mov_b32 s1, 0
	s_mov_b64 s[2:3], 0
.LBB15_128:                             ; =>This Inner Loop Header: Depth=1
	v_lshl_add_u64 v[6:7], s[26:27], 0, v[4:5]
	global_load_ushort v1, v[6:7], off
	v_add_u32_e32 v2, s33, v2
	v_cmp_le_i32_e32 vcc, s18, v2
	v_lshl_add_u64 v[6:7], s[6:7], 0, v[4:5]
	v_lshl_add_u64 v[4:5], v[4:5], 0, s[0:1]
	s_or_b64 s[2:3], vcc, s[2:3]
	s_waitcnt vmcnt(0)
	global_store_short v[6:7], v1, off
	s_andn2_b64 exec, exec, s[2:3]
	s_cbranch_execnz .LBB15_128
.LBB15_129:
	s_or_b64 exec, exec, s[8:9]
	s_mov_b64 s[2:3], 0
.LBB15_130:
	s_and_b64 vcc, exec, s[2:3]
	s_cbranch_vccz .LBB15_139
; %bb.131:
	s_ashr_i32 s8, s34, 3
	v_cmp_gt_i32_e32 vcc, s8, v0
	s_and_saveexec_b64 s[0:1], vcc
	s_cbranch_execz .LBB15_139
; %bb.132:
	v_add_u32_e32 v1, 1, v0
	v_max_i32_e32 v2, s8, v1
	s_and_b32 s0, s33, 0xffff
	v_sub_u32_e32 v8, v2, v0
	s_cmp_eq_u32 s0, 1
	v_cmp_lt_u32_e32 vcc, 3, v8
	s_cselect_b64 s[0:1], -1, 0
	s_and_b64 s[4:5], vcc, s[0:1]
	s_mov_b64 s[2:3], -1
	s_and_saveexec_b64 s[0:1], s[4:5]
	s_cbranch_execz .LBB15_136
; %bb.133:
	v_add_u32_e32 v3, 3, v0
	v_add_u32_e32 v2, 2, v0
	v_and_b32_e32 v9, -4, v8
	v_mov_b64_e32 v[4:5], v[2:3]
	s_mov_b64 s[2:3], 0
	v_mov_b32_e32 v7, 0
	v_mov_b32_e32 v10, v9
	v_mov_b64_e32 v[2:3], v[0:1]
.LBB15_134:                             ; =>This Inner Loop Header: Depth=1
	v_mov_b32_e32 v6, v2
	v_lshlrev_b64 v[28:29], 4, v[6:7]
	v_mov_b32_e32 v6, v3
	v_lshlrev_b64 v[30:31], 4, v[6:7]
	;; [unrolled: 2-line block ×3, first 2 shown]
	v_mov_b32_e32 v6, v5
	v_lshl_add_u64 v[12:13], s[26:27], 0, v[28:29]
	v_lshl_add_u64 v[16:17], s[26:27], 0, v[30:31]
	;; [unrolled: 1-line block ×3, first 2 shown]
	v_lshlrev_b64 v[36:37], 4, v[6:7]
	global_load_dwordx4 v[12:15], v[12:13], off
	v_lshl_add_u64 v[38:39], s[26:27], 0, v[36:37]
	global_load_dwordx4 v[16:19], v[16:17], off
	s_nop 0
	global_load_dwordx4 v[20:23], v[34:35], off
	global_load_dwordx4 v[24:27], v[38:39], off
	v_add_u32_e32 v10, -4, v10
	v_cmp_eq_u32_e32 vcc, 0, v10
	v_add_u32_e32 v2, 4, v2
	v_add_u32_e32 v3, 4, v3
	v_lshl_add_u64 v[28:29], s[6:7], 0, v[28:29]
	v_add_u32_e32 v4, 4, v4
	s_or_b64 s[2:3], vcc, s[2:3]
	v_add_u32_e32 v5, 4, v5
	v_lshl_add_u64 v[30:31], s[6:7], 0, v[30:31]
	v_lshl_add_u64 v[32:33], s[6:7], 0, v[32:33]
	;; [unrolled: 1-line block ×3, first 2 shown]
	s_waitcnt vmcnt(3)
	global_store_dwordx4 v[28:29], v[12:15], off
	s_waitcnt vmcnt(3)
	global_store_dwordx2 v[30:31], v[16:17], off
	global_store_dwordx2 v[30:31], v[18:19], off offset:8
	s_waitcnt vmcnt(4)
	global_store_dwordx4 v[32:33], v[20:23], off
	s_waitcnt vmcnt(4)
	global_store_dwordx4 v[34:35], v[24:27], off
	s_andn2_b64 exec, exec, s[2:3]
	s_cbranch_execnz .LBB15_134
; %bb.135:
	s_or_b64 exec, exec, s[2:3]
	v_cmp_ne_u32_e32 vcc, v8, v9
	v_add_u32_e32 v0, v0, v9
	s_orn2_b64 s[2:3], vcc, exec
.LBB15_136:
	s_or_b64 exec, exec, s[0:1]
	s_and_b64 exec, exec, s[2:3]
	s_cbranch_execz .LBB15_139
; %bb.137:
	s_lshl_b32 s0, s33, 4
	s_add_u32 s2, s10, s22
	s_addc_u32 s3, s11, s23
	v_mov_b32_e32 v1, 0
	s_add_u32 s2, s2, 8
	s_mov_b32 s1, 0
	v_lshlrev_b64 v[2:3], 4, v[0:1]
	s_addc_u32 s3, s3, 0
	s_mov_b64 s[4:5], 0
.LBB15_138:                             ; =>This Inner Loop Header: Depth=1
	v_lshl_add_u64 v[4:5], s[2:3], 0, v[2:3]
	global_load_dwordx4 v[4:7], v[4:5], off offset:-8
	v_add_u32_e32 v0, s33, v0
	v_cmp_le_i32_e32 vcc, s8, v0
	v_lshl_add_u64 v[8:9], s[6:7], 0, v[2:3]
	v_lshl_add_u64 v[2:3], v[2:3], 0, s[0:1]
	s_or_b64 s[4:5], vcc, s[4:5]
	s_waitcnt vmcnt(0)
	global_store_dwordx4 v[8:9], v[4:7], off
	s_andn2_b64 exec, exec, s[4:5]
	s_cbranch_execnz .LBB15_138
.LBB15_139:
	s_endpgm
.LBB15_140:
                                        ; implicit-def: $sgpr6_sgpr7
	s_branch .LBB15_3
	.section	.rodata,"a",@progbits
	.p2align	6, 0x0
	.amdhsa_kernel _ZN4vllm30reshape_and_cache_flash_kernelIttLNS_18Fp8KVCacheDataTypeE0EEEvPKT_S4_PT0_S6_PKlllllliiiPKfSA_
		.amdhsa_group_segment_fixed_size 0
		.amdhsa_private_segment_fixed_size 0
		.amdhsa_kernarg_size 368
		.amdhsa_user_sgpr_count 2
		.amdhsa_user_sgpr_dispatch_ptr 0
		.amdhsa_user_sgpr_queue_ptr 0
		.amdhsa_user_sgpr_kernarg_segment_ptr 1
		.amdhsa_user_sgpr_dispatch_id 0
		.amdhsa_user_sgpr_kernarg_preload_length 0
		.amdhsa_user_sgpr_kernarg_preload_offset 0
		.amdhsa_user_sgpr_private_segment_size 0
		.amdhsa_uses_dynamic_stack 0
		.amdhsa_enable_private_segment 0
		.amdhsa_system_sgpr_workgroup_id_x 1
		.amdhsa_system_sgpr_workgroup_id_y 0
		.amdhsa_system_sgpr_workgroup_id_z 0
		.amdhsa_system_sgpr_workgroup_info 0
		.amdhsa_system_vgpr_workitem_id 0
		.amdhsa_next_free_vgpr 68
		.amdhsa_next_free_sgpr 60
		.amdhsa_accum_offset 68
		.amdhsa_reserve_vcc 1
		.amdhsa_float_round_mode_32 0
		.amdhsa_float_round_mode_16_64 0
		.amdhsa_float_denorm_mode_32 3
		.amdhsa_float_denorm_mode_16_64 3
		.amdhsa_dx10_clamp 1
		.amdhsa_ieee_mode 1
		.amdhsa_fp16_overflow 0
		.amdhsa_tg_split 0
		.amdhsa_exception_fp_ieee_invalid_op 0
		.amdhsa_exception_fp_denorm_src 0
		.amdhsa_exception_fp_ieee_div_zero 0
		.amdhsa_exception_fp_ieee_overflow 0
		.amdhsa_exception_fp_ieee_underflow 0
		.amdhsa_exception_fp_ieee_inexact 0
		.amdhsa_exception_int_div_zero 0
	.end_amdhsa_kernel
	.section	.text._ZN4vllm30reshape_and_cache_flash_kernelIttLNS_18Fp8KVCacheDataTypeE0EEEvPKT_S4_PT0_S6_PKlllllliiiPKfSA_,"axG",@progbits,_ZN4vllm30reshape_and_cache_flash_kernelIttLNS_18Fp8KVCacheDataTypeE0EEEvPKT_S4_PT0_S6_PKlllllliiiPKfSA_,comdat
.Lfunc_end15:
	.size	_ZN4vllm30reshape_and_cache_flash_kernelIttLNS_18Fp8KVCacheDataTypeE0EEEvPKT_S4_PT0_S6_PKlllllliiiPKfSA_, .Lfunc_end15-_ZN4vllm30reshape_and_cache_flash_kernelIttLNS_18Fp8KVCacheDataTypeE0EEEvPKT_S4_PT0_S6_PKlllllliiiPKfSA_
                                        ; -- End function
	.set _ZN4vllm30reshape_and_cache_flash_kernelIttLNS_18Fp8KVCacheDataTypeE0EEEvPKT_S4_PT0_S6_PKlllllliiiPKfSA_.num_vgpr, 68
	.set _ZN4vllm30reshape_and_cache_flash_kernelIttLNS_18Fp8KVCacheDataTypeE0EEEvPKT_S4_PT0_S6_PKlllllliiiPKfSA_.num_agpr, 0
	.set _ZN4vllm30reshape_and_cache_flash_kernelIttLNS_18Fp8KVCacheDataTypeE0EEEvPKT_S4_PT0_S6_PKlllllliiiPKfSA_.numbered_sgpr, 60
	.set _ZN4vllm30reshape_and_cache_flash_kernelIttLNS_18Fp8KVCacheDataTypeE0EEEvPKT_S4_PT0_S6_PKlllllliiiPKfSA_.num_named_barrier, 0
	.set _ZN4vllm30reshape_and_cache_flash_kernelIttLNS_18Fp8KVCacheDataTypeE0EEEvPKT_S4_PT0_S6_PKlllllliiiPKfSA_.private_seg_size, 0
	.set _ZN4vllm30reshape_and_cache_flash_kernelIttLNS_18Fp8KVCacheDataTypeE0EEEvPKT_S4_PT0_S6_PKlllllliiiPKfSA_.uses_vcc, 1
	.set _ZN4vllm30reshape_and_cache_flash_kernelIttLNS_18Fp8KVCacheDataTypeE0EEEvPKT_S4_PT0_S6_PKlllllliiiPKfSA_.uses_flat_scratch, 0
	.set _ZN4vllm30reshape_and_cache_flash_kernelIttLNS_18Fp8KVCacheDataTypeE0EEEvPKT_S4_PT0_S6_PKlllllliiiPKfSA_.has_dyn_sized_stack, 0
	.set _ZN4vllm30reshape_and_cache_flash_kernelIttLNS_18Fp8KVCacheDataTypeE0EEEvPKT_S4_PT0_S6_PKlllllliiiPKfSA_.has_recursion, 0
	.set _ZN4vllm30reshape_and_cache_flash_kernelIttLNS_18Fp8KVCacheDataTypeE0EEEvPKT_S4_PT0_S6_PKlllllliiiPKfSA_.has_indirect_call, 0
	.section	.AMDGPU.csdata,"",@progbits
; Kernel info:
; codeLenInByte = 7540
; TotalNumSgprs: 66
; NumVgprs: 68
; NumAgprs: 0
; TotalNumVgprs: 68
; ScratchSize: 0
; MemoryBound: 0
; FloatMode: 240
; IeeeMode: 1
; LDSByteSize: 0 bytes/workgroup (compile time only)
; SGPRBlocks: 8
; VGPRBlocks: 8
; NumSGPRsForWavesPerEU: 66
; NumVGPRsForWavesPerEU: 68
; AccumOffset: 68
; Occupancy: 7
; WaveLimiterHint : 1
; COMPUTE_PGM_RSRC2:SCRATCH_EN: 0
; COMPUTE_PGM_RSRC2:USER_SGPR: 2
; COMPUTE_PGM_RSRC2:TRAP_HANDLER: 0
; COMPUTE_PGM_RSRC2:TGID_X_EN: 1
; COMPUTE_PGM_RSRC2:TGID_Y_EN: 0
; COMPUTE_PGM_RSRC2:TGID_Z_EN: 0
; COMPUTE_PGM_RSRC2:TIDIG_COMP_CNT: 0
; COMPUTE_PGM_RSRC3_GFX90A:ACCUM_OFFSET: 16
; COMPUTE_PGM_RSRC3_GFX90A:TG_SPLIT: 0
	.section	.text._ZN4vllm30reshape_and_cache_flash_kernelI14__hip_bfloat16S1_LNS_18Fp8KVCacheDataTypeE0EEEvPKT_S5_PT0_S7_PKlllllliiiPKfSB_,"axG",@progbits,_ZN4vllm30reshape_and_cache_flash_kernelI14__hip_bfloat16S1_LNS_18Fp8KVCacheDataTypeE0EEEvPKT_S5_PT0_S7_PKlllllliiiPKfSB_,comdat
	.protected	_ZN4vllm30reshape_and_cache_flash_kernelI14__hip_bfloat16S1_LNS_18Fp8KVCacheDataTypeE0EEEvPKT_S5_PT0_S7_PKlllllliiiPKfSB_ ; -- Begin function _ZN4vllm30reshape_and_cache_flash_kernelI14__hip_bfloat16S1_LNS_18Fp8KVCacheDataTypeE0EEEvPKT_S5_PT0_S7_PKlllllliiiPKfSB_
	.globl	_ZN4vllm30reshape_and_cache_flash_kernelI14__hip_bfloat16S1_LNS_18Fp8KVCacheDataTypeE0EEEvPKT_S5_PT0_S7_PKlllllliiiPKfSB_
	.p2align	8
	.type	_ZN4vllm30reshape_and_cache_flash_kernelI14__hip_bfloat16S1_LNS_18Fp8KVCacheDataTypeE0EEEvPKT_S5_PT0_S7_PKlllllliiiPKfSB_,@function
_ZN4vllm30reshape_and_cache_flash_kernelI14__hip_bfloat16S1_LNS_18Fp8KVCacheDataTypeE0EEEvPKT_S5_PT0_S7_PKlllllliiiPKfSB_: ; @_ZN4vllm30reshape_and_cache_flash_kernelI14__hip_bfloat16S1_LNS_18Fp8KVCacheDataTypeE0EEEvPKT_S5_PT0_S7_PKlllllliiiPKfSB_
; %bb.0:
	s_load_dwordx2 s[4:5], s[0:1], 0x20
	s_mov_b32 s3, 0
	s_lshl_b64 s[6:7], s[2:3], 3
	s_waitcnt lgkmcnt(0)
	s_add_u32 s4, s4, s6
	s_addc_u32 s5, s5, s7
	s_load_dwordx2 s[4:5], s[4:5], 0x0
	s_waitcnt lgkmcnt(0)
	v_cmp_lt_i64_e64 s[6:7], s[4:5], 0
	s_and_b64 vcc, exec, s[6:7]
	s_cbranch_vccnz .LBB16_139
; %bb.1:
	s_load_dwordx4 s[24:27], s[0:1], 0x50
	s_load_dwordx8 s[8:15], s[0:1], 0x0
	s_waitcnt lgkmcnt(0)
	s_ashr_i32 s27, s26, 31
	s_or_b64 s[6:7], s[4:5], s[26:27]
	s_mov_b32 s6, s3
	s_cmp_lg_u64 s[6:7], 0
	s_cbranch_scc0 .LBB16_140
; %bb.2:
	s_ashr_i32 s6, s27, 31
	s_add_u32 s16, s26, s6
	s_mov_b32 s7, s6
	s_addc_u32 s17, s27, s6
	s_xor_b64 s[18:19], s[16:17], s[6:7]
	v_cvt_f32_u32_e32 v1, s18
	v_cvt_f32_u32_e32 v2, s19
	s_sub_u32 s3, 0, s18
	s_subb_u32 s22, 0, s19
	v_fmamk_f32 v1, v2, 0x4f800000, v1
	v_rcp_f32_e32 v1, v1
	s_nop 0
	v_mul_f32_e32 v1, 0x5f7ffffc, v1
	v_mul_f32_e32 v2, 0x2f800000, v1
	v_trunc_f32_e32 v2, v2
	v_fmamk_f32 v1, v2, 0xcf800000, v1
	v_cvt_u32_f32_e32 v2, v2
	v_cvt_u32_f32_e32 v1, v1
	v_readfirstlane_b32 s23, v2
	v_readfirstlane_b32 s20, v1
	s_mul_i32 s21, s3, s23
	s_mul_hi_u32 s29, s3, s20
	s_mul_i32 s28, s22, s20
	s_add_i32 s21, s29, s21
	s_add_i32 s21, s21, s28
	s_mul_i32 s30, s3, s20
	s_mul_i32 s29, s20, s21
	s_mul_hi_u32 s31, s20, s30
	s_mul_hi_u32 s28, s20, s21
	s_add_u32 s29, s31, s29
	s_addc_u32 s28, 0, s28
	s_mul_hi_u32 s33, s23, s30
	s_mul_i32 s30, s23, s30
	s_add_u32 s29, s29, s30
	s_mul_hi_u32 s31, s23, s21
	s_addc_u32 s28, s28, s33
	s_addc_u32 s29, s31, 0
	s_mul_i32 s21, s23, s21
	s_add_u32 s21, s28, s21
	s_addc_u32 s28, 0, s29
	s_add_u32 s29, s20, s21
	s_cselect_b64 s[20:21], -1, 0
	s_cmp_lg_u64 s[20:21], 0
	s_addc_u32 s23, s23, s28
	s_mul_i32 s20, s3, s23
	s_mul_hi_u32 s21, s3, s29
	s_add_i32 s20, s21, s20
	s_mul_i32 s22, s22, s29
	s_add_i32 s20, s20, s22
	s_mul_i32 s3, s3, s29
	s_mul_hi_u32 s22, s23, s3
	s_mul_i32 s28, s23, s3
	s_mul_i32 s31, s29, s20
	s_mul_hi_u32 s3, s29, s3
	s_mul_hi_u32 s30, s29, s20
	s_add_u32 s3, s3, s31
	s_addc_u32 s30, 0, s30
	s_add_u32 s3, s3, s28
	s_mul_hi_u32 s21, s23, s20
	s_addc_u32 s3, s30, s22
	s_addc_u32 s21, s21, 0
	s_mul_i32 s20, s23, s20
	s_add_u32 s3, s3, s20
	s_addc_u32 s22, 0, s21
	s_add_u32 s3, s29, s3
	s_cselect_b64 s[20:21], -1, 0
	s_cmp_lg_u64 s[20:21], 0
	s_addc_u32 s28, s23, s22
	s_ashr_i32 s20, s5, 31
	s_add_u32 s22, s4, s20
	s_mov_b32 s21, s20
	s_addc_u32 s23, s5, s20
	s_xor_b64 s[22:23], s[22:23], s[20:21]
	s_mul_i32 s30, s22, s28
	s_mul_hi_u32 s31, s22, s3
	s_mul_hi_u32 s29, s22, s28
	s_add_u32 s30, s31, s30
	s_addc_u32 s29, 0, s29
	s_mul_hi_u32 s33, s23, s3
	s_mul_i32 s3, s23, s3
	s_add_u32 s3, s30, s3
	s_mul_hi_u32 s31, s23, s28
	s_addc_u32 s3, s29, s33
	s_addc_u32 s29, s31, 0
	s_mul_i32 s28, s23, s28
	s_add_u32 s3, s3, s28
	s_addc_u32 s33, 0, s29
	s_mul_i32 s28, s18, s33
	s_mul_hi_u32 s29, s18, s3
	s_add_i32 s28, s29, s28
	s_mul_i32 s29, s19, s3
	s_add_i32 s34, s28, s29
	s_sub_i32 s30, s23, s34
	s_mul_i32 s28, s18, s3
	s_sub_u32 s22, s22, s28
	s_cselect_b64 s[28:29], -1, 0
	s_cmp_lg_u64 s[28:29], 0
	s_subb_u32 s35, s30, s19
	s_sub_u32 s36, s22, s18
	s_cselect_b64 s[30:31], -1, 0
	s_cmp_lg_u64 s[30:31], 0
	s_subb_u32 s30, s35, 0
	s_cmp_ge_u32 s30, s19
	s_cselect_b32 s31, -1, 0
	s_cmp_ge_u32 s36, s18
	s_cselect_b32 s35, -1, 0
	s_cmp_eq_u32 s30, s19
	s_cselect_b32 s30, s35, s31
	s_add_u32 s31, s3, 1
	s_addc_u32 s35, s33, 0
	s_add_u32 s36, s3, 2
	s_addc_u32 s37, s33, 0
	s_cmp_lg_u32 s30, 0
	s_cselect_b32 s30, s36, s31
	s_cselect_b32 s31, s37, s35
	s_cmp_lg_u64 s[28:29], 0
	s_subb_u32 s23, s23, s34
	s_cmp_ge_u32 s23, s19
	s_cselect_b32 s28, -1, 0
	s_cmp_ge_u32 s22, s18
	s_cselect_b32 s18, -1, 0
	s_cmp_eq_u32 s23, s19
	s_cselect_b32 s18, s18, s28
	s_cmp_lg_u32 s18, 0
	s_cselect_b32 s19, s31, s33
	s_cselect_b32 s18, s30, s3
	s_xor_b64 s[6:7], s[20:21], s[6:7]
	s_xor_b64 s[18:19], s[18:19], s[6:7]
	s_sub_u32 s6, s18, s6
	s_subb_u32 s7, s19, s7
	s_cbranch_execnz .LBB16_4
.LBB16_3:
	v_cvt_f32_u32_e32 v1, s26
	s_sub_i32 s3, 0, s26
	s_mov_b32 s7, 0
	v_rcp_iflag_f32_e32 v1, v1
	s_nop 0
	v_mul_f32_e32 v1, 0x4f7ffffe, v1
	v_cvt_u32_f32_e32 v1, v1
	s_nop 0
	v_readfirstlane_b32 s6, v1
	s_mul_i32 s3, s3, s6
	s_mul_hi_u32 s3, s6, s3
	s_add_i32 s6, s6, s3
	s_mul_hi_u32 s3, s4, s6
	s_mul_i32 s16, s3, s26
	s_sub_i32 s16, s4, s16
	s_add_i32 s6, s3, 1
	s_sub_i32 s17, s16, s26
	s_cmp_ge_u32 s16, s26
	s_cselect_b32 s3, s6, s3
	s_cselect_b32 s16, s17, s16
	s_add_i32 s6, s3, 1
	s_cmp_ge_u32 s16, s26
	s_cselect_b32 s6, s6, s3
.LBB16_4:
	s_load_dwordx8 s[16:23], s[0:1], 0x28
	s_load_dwordx2 s[34:35], s[0:1], 0x48
	s_mul_i32 s3, s6, s27
	s_mul_hi_u32 s27, s6, s26
	s_add_i32 s3, s27, s3
	s_mul_i32 s27, s7, s26
	s_add_i32 s3, s3, s27
	s_mul_i32 s26, s6, s26
	s_sub_u32 s33, s4, s26
	s_subb_u32 s3, s5, s3
	s_waitcnt lgkmcnt(0)
	s_mul_i32 s4, s23, s2
	s_mul_hi_u32 s5, s22, s2
	s_add_i32 s5, s5, s4
	s_mul_i32 s4, s22, s2
	s_lshl_b64 s[28:29], s[4:5], 1
	s_add_u32 s30, s8, s28
	s_load_dword s36, s[0:1], 0x7c
	s_mul_i32 s0, s35, s2
	s_mul_hi_u32 s1, s34, s2
	s_addc_u32 s31, s9, s29
	s_add_i32 s1, s1, s0
	s_mul_i32 s0, s34, s2
	s_lshl_b64 s[22:23], s[0:1], 1
	s_add_u32 s26, s10, s22
	s_mul_i32 s0, s6, s17
	s_mul_hi_u32 s1, s6, s16
	s_addc_u32 s27, s11, s23
	s_add_i32 s0, s1, s0
	s_mul_i32 s1, s7, s16
	s_add_i32 s1, s0, s1
	s_mul_i32 s0, s6, s16
	s_lshl_b64 s[4:5], s[0:1], 1
	s_add_u32 s2, s12, s4
	s_mul_i32 s0, s33, s19
	s_mul_hi_u32 s1, s33, s18
	s_addc_u32 s6, s13, s5
	s_add_i32 s0, s1, s0
	s_mul_i32 s3, s3, s18
	s_add_i32 s1, s0, s3
	s_mul_i32 s0, s33, s18
	s_lshl_b64 s[34:35], s[0:1], 1
	s_add_u32 s16, s2, s34
	s_addc_u32 s17, s6, s35
	s_add_u32 s0, s14, s4
	s_addc_u32 s1, s15, s5
	;; [unrolled: 2-line block ×3, first 2 shown]
	s_ashr_i32 s1, s25, 31
	s_mov_b32 s0, s25
	s_waitcnt lgkmcnt(0)
	s_and_b32 s33, s36, 0xffff
	s_cmp_lg_u64 s[20:21], s[0:1]
	s_mov_b64 s[0:1], -1
	s_cbranch_scc0 .LBB16_77
; %bb.5:
	v_lshrrev_b32_e32 v1, 5, v0
	v_cmp_gt_i32_e32 vcc, s24, v1
	s_and_saveexec_b64 s[18:19], vcc
	s_cbranch_execz .LBB16_76
; %bb.6:
	s_lshr_b32 s56, s33, 5
	s_and_b32 s0, s25, 7
	s_cmp_eq_u32 s0, 0
	s_cselect_b64 s[42:43], -1, 0
	s_ashr_i32 s57, s25, 3
	v_bitop3_b32 v42, v0, 31, v0 bitop3:0x3f
	v_add_u32_e32 v6, s57, v42
	v_lshrrev_b32_e32 v2, 5, v6
	v_add_u32_e32 v7, 1, v2
	s_movk_i32 s58, 0x5f
	v_and_b32_e32 v43, 0xffffffc, v7
	v_cmp_lt_u32_e64 s[0:1], s58, v6
	v_cmp_ne_u32_e64 s[2:3], v7, v43
	v_mad_u64_u32 v[6:7], s[36:37], s20, v1, 0
	v_mov_b32_e32 v8, v7
	v_mad_u64_u32 v[8:9], s[36:37], s21, v1, v[8:9]
	s_add_u32 s4, s34, s4
	v_mov_b32_e32 v7, v8
	s_addc_u32 s5, s35, s5
	v_lshl_add_u64 v[6:7], v[6:7], 1, s[4:5]
	s_mul_i32 s4, s21, s56
	s_mul_hi_u32 s5, s20, s56
	s_add_i32 s5, s5, s4
	s_mul_i32 s4, s20, s56
	v_lshl_add_u64 v[18:19], s[12:13], 0, v[6:7]
	s_lshl_b64 s[12:13], s[4:5], 1
	s_add_u32 s34, s8, s28
	s_addc_u32 s35, s9, s29
	s_add_u32 s36, s34, 8
	s_addc_u32 s37, s35, 0
	v_lshl_add_u64 v[22:23], s[14:15], 0, v[6:7]
	s_add_u32 s14, s10, s22
	s_addc_u32 s15, s11, s23
	v_and_b32_e32 v12, 31, v0
	v_mov_b32_e32 v15, 0
	s_add_u32 s38, s14, 8
	v_cmp_gt_i32_e32 vcc, s57, v12
	v_mov_b32_e32 v13, v15
	v_or_b32_e32 v3, 32, v12
	v_or_b32_e32 v5, 0x60, v12
	;; [unrolled: 1-line block ×3, first 2 shown]
	v_mov_b32_e32 v2, v12
	v_lshl_or_b32 v16, v43, 5, v12
	v_mul_lo_u32 v20, s25, v1
	s_mul_i32 s59, s25, s56
	s_addc_u32 s39, s15, 0
	s_mov_b64 s[40:41], 0
	s_xor_b64 s[42:43], s[42:43], -1
	s_mov_b64 s[44:45], 0x200
	v_lshlrev_b32_e32 v24, 1, v12
	s_branch .LBB16_9
.LBB16_7:                               ;   in Loop: Header=BB16_9 Depth=1
	s_or_b64 exec, exec, s[48:49]
.LBB16_8:                               ;   in Loop: Header=BB16_9 Depth=1
	s_or_b64 exec, exec, s[46:47]
	v_add_u32_e32 v1, s56, v1
	v_cmp_le_i32_e64 s[4:5], s24, v1
	v_lshl_add_u64 v[18:19], v[18:19], 0, s[12:13]
	v_add_u32_e32 v20, s59, v20
	s_or_b64 s[40:41], s[4:5], s[40:41]
	v_lshl_add_u64 v[22:23], v[22:23], 0, s[12:13]
	s_andn2_b64 exec, exec, s[40:41]
	s_cbranch_execz .LBB16_76
.LBB16_9:                               ; =>This Loop Header: Depth=1
                                        ;     Child Loop BB16_15 Depth 2
                                        ;     Child Loop BB16_21 Depth 2
                                        ;     Child Loop BB16_25 Depth 2
                                        ;     Child Loop BB16_29 Depth 2
                                        ;     Child Loop BB16_35 Depth 2
                                        ;     Child Loop BB16_41 Depth 2
                                        ;     Child Loop BB16_49 Depth 2
                                        ;     Child Loop BB16_55 Depth 2
                                        ;     Child Loop BB16_59 Depth 2
                                        ;     Child Loop BB16_63 Depth 2
                                        ;     Child Loop BB16_69 Depth 2
                                        ;     Child Loop BB16_75 Depth 2
	v_mul_lo_u32 v28, v1, s25
	v_ashrrev_i32_e32 v29, 31, v28
	v_mad_u64_u32 v[30:31], s[4:5], s20, v1, 0
	v_lshl_add_u64 v[10:11], v[28:29], 1, s[30:31]
	v_mov_b32_e32 v6, v31
	v_ashrrev_i32_e32 v21, 31, v20
	v_mad_u64_u32 v[6:7], s[4:5], s21, v1, v[6:7]
	v_and_b32_e32 v14, 15, v10
	v_lshlrev_b64 v[26:27], 1, v[20:21]
	v_mov_b32_e32 v31, v6
	v_cmp_ne_u64_e64 s[4:5], 0, v[14:15]
	v_lshl_add_u64 v[32:33], s[34:35], 0, v[26:27]
	v_lshl_add_u64 v[38:39], v[30:31], 1, s[16:17]
	s_or_b64 s[4:5], s[42:43], s[4:5]
	s_and_saveexec_b64 s[46:47], s[4:5]
	s_xor_b64 s[46:47], exec, s[46:47]
	s_cbranch_execz .LBB16_31
; %bb.10:                               ;   in Loop: Header=BB16_9 Depth=1
	v_sub_u32_e32 v6, 0, v10
	v_bfe_u32 v6, v6, 1, 3
	v_min_i32_e32 v34, s25, v6
	v_cmp_lt_i32_e64 s[4:5], v12, v34
	s_and_saveexec_b64 s[48:49], s[4:5]
	s_cbranch_execz .LBB16_12
; %bb.11:                               ;   in Loop: Header=BB16_9 Depth=1
	v_mov_b32_e32 v25, v15
	v_lshl_add_u64 v[6:7], v[10:11], 0, v[24:25]
	global_load_ushort v8, v[6:7], off
	v_lshl_add_u64 v[6:7], v[38:39], 0, v[24:25]
	s_waitcnt vmcnt(0)
	global_store_short v[6:7], v8, off
.LBB16_12:                              ;   in Loop: Header=BB16_9 Depth=1
	s_or_b64 exec, exec, s[48:49]
	v_sub_u32_e32 v17, s25, v34
	v_ashrrev_i32_e32 v6, 31, v17
	v_ashrrev_i32_e32 v35, 31, v34
	v_lshrrev_b32_e32 v6, 29, v6
	v_lshlrev_b64 v[40:41], 1, v[34:35]
	v_add_u32_e32 v6, v17, v6
	v_lshl_add_u64 v[36:37], v[10:11], 0, v[40:41]
	v_ashrrev_i32_e32 v10, 3, v6
	v_lshl_add_u64 v[38:39], v[38:39], 0, v[40:41]
	v_cmp_lt_i32_e64 s[4:5], v12, v10
	s_and_saveexec_b64 s[48:49], s[4:5]
	s_cbranch_execz .LBB16_22
; %bb.13:                               ;   in Loop: Header=BB16_9 Depth=1
	v_add_u32_e32 v8, v10, v42
	v_cmp_lt_u32_e64 s[4:5], s58, v8
	s_mov_b64 s[52:53], -1
	v_mov_b32_e32 v14, v12
	v_mov_b64_e32 v[6:7], v[12:13]
	s_and_saveexec_b64 s[50:51], s[4:5]
	s_cbranch_execz .LBB16_19
; %bb.14:                               ;   in Loop: Header=BB16_9 Depth=1
	v_lshrrev_b32_e32 v6, 5, v8
	v_add_u32_e32 v21, 1, v6
	v_and_b32_e32 v11, 0xffffffc, v21
	v_mov_b64_e32 v[8:9], v[4:5]
	s_mov_b64 s[52:53], 0
	v_mov_b32_e32 v25, v11
	v_mov_b64_e32 v[6:7], v[2:3]
.LBB16_15:                              ;   Parent Loop BB16_9 Depth=1
                                        ; =>  This Inner Loop Header: Depth=2
	v_mov_b32_e32 v14, v6
	v_lshlrev_b64 v[60:61], 4, v[14:15]
	v_mov_b32_e32 v14, v7
	v_lshlrev_b64 v[62:63], 4, v[14:15]
	;; [unrolled: 2-line block ×4, first 2 shown]
	v_lshl_add_u64 v[44:45], v[36:37], 0, v[60:61]
	v_lshl_add_u64 v[48:49], v[36:37], 0, v[62:63]
	;; [unrolled: 1-line block ×4, first 2 shown]
	global_load_dwordx4 v[44:47], v[44:45], off
	v_add_u32_e32 v25, -4, v25
	global_load_dwordx4 v[48:51], v[48:49], off
	s_nop 0
	global_load_dwordx4 v[52:55], v[52:53], off
	s_nop 0
	global_load_dwordx4 v[56:59], v[56:57], off
	v_cmp_eq_u32_e64 s[4:5], 0, v25
	v_add_u32_e32 v6, 0x80, v6
	v_add_u32_e32 v7, 0x80, v7
	v_lshl_add_u64 v[60:61], v[38:39], 0, v[60:61]
	v_add_u32_e32 v8, 0x80, v8
	s_or_b64 s[52:53], s[4:5], s[52:53]
	v_add_u32_e32 v9, 0x80, v9
	v_lshl_add_u64 v[62:63], v[38:39], 0, v[62:63]
	v_lshl_add_u64 v[64:65], v[38:39], 0, v[64:65]
	;; [unrolled: 1-line block ×3, first 2 shown]
	s_waitcnt vmcnt(3)
	global_store_dwordx4 v[60:61], v[44:47], off
	s_waitcnt vmcnt(3)
	global_store_dwordx2 v[62:63], v[48:49], off
	global_store_dwordx2 v[62:63], v[50:51], off offset:8
	s_waitcnt vmcnt(4)
	global_store_dwordx4 v[64:65], v[52:55], off
	s_waitcnt vmcnt(4)
	global_store_dwordx4 v[66:67], v[56:59], off
	s_andn2_b64 exec, exec, s[52:53]
	s_cbranch_execnz .LBB16_15
; %bb.16:                               ;   in Loop: Header=BB16_9 Depth=1
	s_or_b64 exec, exec, s[52:53]
	v_cmp_ne_u32_e64 s[4:5], v21, v11
	s_mov_b64 s[52:53], 0
                                        ; implicit-def: $vgpr6_vgpr7
	s_and_saveexec_b64 s[54:55], s[4:5]
; %bb.17:                               ;   in Loop: Header=BB16_9 Depth=1
	v_lshl_or_b32 v14, v11, 5, v12
	s_mov_b64 s[52:53], exec
	v_mov_b64_e32 v[6:7], v[14:15]
; %bb.18:                               ;   in Loop: Header=BB16_9 Depth=1
	s_or_b64 exec, exec, s[54:55]
	s_orn2_b64 s[52:53], s[52:53], exec
.LBB16_19:                              ;   in Loop: Header=BB16_9 Depth=1
	s_or_b64 exec, exec, s[50:51]
	s_and_b64 exec, exec, s[52:53]
	s_cbranch_execz .LBB16_22
; %bb.20:                               ;   in Loop: Header=BB16_9 Depth=1
	v_lshl_add_u64 v[8:9], v[6:7], 4, v[40:41]
	v_lshl_add_u64 v[6:7], v[18:19], 0, v[8:9]
	v_lshl_add_u64 v[8:9], v[8:9], 0, v[26:27]
	v_lshl_add_u64 v[8:9], s[36:37], 0, v[8:9]
	s_mov_b64 s[50:51], 0
.LBB16_21:                              ;   Parent Loop BB16_9 Depth=1
                                        ; =>  This Inner Loop Header: Depth=2
	global_load_dwordx4 v[44:47], v[8:9], off offset:-8
	v_add_u32_e32 v14, 32, v14
	v_cmp_ge_i32_e64 s[4:5], v14, v10
	v_lshl_add_u64 v[8:9], v[8:9], 0, s[44:45]
	s_or_b64 s[50:51], s[4:5], s[50:51]
	s_waitcnt vmcnt(0)
	global_store_dwordx4 v[6:7], v[44:47], off
	v_lshl_add_u64 v[6:7], v[6:7], 0, s[44:45]
	s_andn2_b64 exec, exec, s[50:51]
	s_cbranch_execnz .LBB16_21
.LBB16_22:                              ;   in Loop: Header=BB16_9 Depth=1
	s_or_b64 exec, exec, s[48:49]
	v_lshlrev_b32_e32 v7, 3, v10
	v_add_u32_e32 v6, v7, v12
	v_cmp_lt_i32_e64 s[4:5], v6, v17
	s_and_saveexec_b64 s[48:49], s[4:5]
	s_cbranch_execz .LBB16_30
; %bb.23:                               ;   in Loop: Header=BB16_9 Depth=1
	v_add_u32_e32 v8, v3, v7
	v_max_i32_e32 v8, v8, v17
	v_add_u32_e32 v8, v8, v42
	v_sub_u32_e32 v7, v8, v7
	v_cmp_lt_u32_e64 s[4:5], s58, v7
	s_mov_b64 s[52:53], -1
	s_and_saveexec_b64 s[50:51], s[4:5]
	s_cbranch_execz .LBB16_27
; %bb.24:                               ;   in Loop: Header=BB16_9 Depth=1
	v_lshrrev_b32_e32 v7, 5, v7
	v_add_u32_e32 v14, 1, v7
	v_add_u32_e32 v9, 0x60, v6
	;; [unrolled: 1-line block ×3, first 2 shown]
	v_and_b32_e32 v21, 0xffffffc, v14
	v_add_u32_e32 v7, 32, v6
	v_mov_b64_e32 v[10:11], v[8:9]
	s_mov_b64 s[52:53], 0
	v_mov_b32_e32 v25, v21
	v_mov_b64_e32 v[8:9], v[6:7]
.LBB16_25:                              ;   Parent Loop BB16_9 Depth=1
                                        ; =>  This Inner Loop Header: Depth=2
	v_ashrrev_i32_e32 v47, 31, v9
	v_mov_b32_e32 v46, v9
	v_ashrrev_i32_e32 v49, 31, v8
	v_mov_b32_e32 v48, v8
	;; [unrolled: 2-line block ×4, first 2 shown]
	v_lshlrev_b64 v[48:49], 1, v[48:49]
	v_lshlrev_b64 v[46:47], 1, v[46:47]
	;; [unrolled: 1-line block ×4, first 2 shown]
	v_lshl_add_u64 v[50:51], v[36:37], 0, v[48:49]
	v_lshl_add_u64 v[52:53], v[36:37], 0, v[46:47]
	;; [unrolled: 1-line block ×4, first 2 shown]
	global_load_ushort v7, v[50:51], off
	s_nop 0
	global_load_ushort v50, v[52:53], off
	global_load_ushort v51, v[54:55], off
	s_nop 0
	global_load_ushort v52, v[56:57], off
	v_add_u32_e32 v25, -4, v25
	v_cmp_eq_u32_e64 s[4:5], 0, v25
	v_add_u32_e32 v11, 0x80, v11
	v_add_u32_e32 v10, 0x80, v10
	;; [unrolled: 1-line block ×4, first 2 shown]
	v_lshl_add_u64 v[48:49], v[38:39], 0, v[48:49]
	s_or_b64 s[52:53], s[4:5], s[52:53]
	v_lshl_add_u64 v[46:47], v[38:39], 0, v[46:47]
	v_lshl_add_u64 v[44:45], v[38:39], 0, v[44:45]
	v_lshl_add_u64 v[40:41], v[38:39], 0, v[40:41]
	s_waitcnt vmcnt(3)
	global_store_short v[48:49], v7, off
	s_waitcnt vmcnt(3)
	global_store_short v[46:47], v50, off
	s_waitcnt vmcnt(3)
	global_store_short v[44:45], v51, off
	s_waitcnt vmcnt(3)
	global_store_short v[40:41], v52, off
	s_andn2_b64 exec, exec, s[52:53]
	s_cbranch_execnz .LBB16_25
; %bb.26:                               ;   in Loop: Header=BB16_9 Depth=1
	s_or_b64 exec, exec, s[52:53]
	v_cmp_ne_u32_e64 s[4:5], v14, v21
	v_lshl_add_u32 v6, v21, 5, v6
	s_orn2_b64 s[52:53], s[4:5], exec
.LBB16_27:                              ;   in Loop: Header=BB16_9 Depth=1
	s_or_b64 exec, exec, s[50:51]
	s_and_b64 exec, exec, s[52:53]
	s_cbranch_execz .LBB16_30
; %bb.28:                               ;   in Loop: Header=BB16_9 Depth=1
	v_ashrrev_i32_e32 v7, 31, v6
	v_lshlrev_b64 v[8:9], 1, v[6:7]
	v_lshl_add_u64 v[8:9], v[34:35], 1, v[8:9]
	s_mov_b64 s[50:51], 0
.LBB16_29:                              ;   Parent Loop BB16_9 Depth=1
                                        ; =>  This Inner Loop Header: Depth=2
	v_lshl_add_u64 v[10:11], v[32:33], 0, v[8:9]
	global_load_ushort v7, v[10:11], off
	v_add_u32_e32 v6, 32, v6
	v_cmp_ge_i32_e64 s[4:5], v6, v17
	v_lshl_add_u64 v[10:11], v[18:19], 0, v[8:9]
	v_lshl_add_u64 v[8:9], v[8:9], 0, 64
	s_or_b64 s[50:51], s[4:5], s[50:51]
	s_waitcnt vmcnt(0)
	global_store_short v[10:11], v7, off
	s_andn2_b64 exec, exec, s[50:51]
	s_cbranch_execnz .LBB16_29
.LBB16_30:                              ;   in Loop: Header=BB16_9 Depth=1
	s_or_b64 exec, exec, s[48:49]
                                        ; implicit-def: $vgpr32_vgpr33
                                        ; implicit-def: $vgpr10_vgpr11
                                        ; implicit-def: $vgpr38_vgpr39
.LBB16_31:                              ;   in Loop: Header=BB16_9 Depth=1
	s_andn2_saveexec_b64 s[46:47], s[46:47]
	s_cbranch_execz .LBB16_43
; %bb.32:                               ;   in Loop: Header=BB16_9 Depth=1
	s_and_saveexec_b64 s[48:49], vcc
	s_cbranch_execz .LBB16_42
; %bb.33:                               ;   in Loop: Header=BB16_9 Depth=1
	s_mov_b64 s[4:5], -1
	v_mov_b32_e32 v8, v12
	v_mov_b64_e32 v[6:7], v[12:13]
	s_and_saveexec_b64 s[50:51], s[0:1]
	s_cbranch_execz .LBB16_39
; %bb.34:                               ;   in Loop: Header=BB16_9 Depth=1
	v_mov_b64_e32 v[8:9], v[4:5]
	s_mov_b64 s[52:53], 0
	v_mov_b32_e32 v17, v43
	v_mov_b64_e32 v[6:7], v[2:3]
.LBB16_35:                              ;   Parent Loop BB16_9 Depth=1
                                        ; =>  This Inner Loop Header: Depth=2
	v_mov_b32_e32 v14, v6
	v_lshlrev_b64 v[40:41], 4, v[14:15]
	v_mov_b32_e32 v14, v7
	v_lshlrev_b64 v[56:57], 4, v[14:15]
	;; [unrolled: 2-line block ×4, first 2 shown]
	v_lshl_add_u64 v[34:35], v[10:11], 0, v[40:41]
	v_lshl_add_u64 v[44:45], v[10:11], 0, v[56:57]
	;; [unrolled: 1-line block ×4, first 2 shown]
	global_load_dwordx4 v[34:37], v[34:35], off
	v_add_u32_e32 v17, -4, v17
	global_load_dwordx4 v[44:47], v[44:45], off
	s_nop 0
	global_load_dwordx4 v[48:51], v[48:49], off
	s_nop 0
	global_load_dwordx4 v[52:55], v[52:53], off
	v_cmp_eq_u32_e64 s[4:5], 0, v17
	v_add_u32_e32 v6, 0x80, v6
	v_add_u32_e32 v7, 0x80, v7
	v_lshl_add_u64 v[40:41], v[38:39], 0, v[40:41]
	v_add_u32_e32 v8, 0x80, v8
	s_or_b64 s[52:53], s[4:5], s[52:53]
	v_add_u32_e32 v9, 0x80, v9
	v_lshl_add_u64 v[56:57], v[38:39], 0, v[56:57]
	v_lshl_add_u64 v[58:59], v[38:39], 0, v[58:59]
	;; [unrolled: 1-line block ×3, first 2 shown]
	s_waitcnt vmcnt(3)
	global_store_dwordx4 v[40:41], v[34:37], off
	s_waitcnt vmcnt(3)
	global_store_dwordx2 v[56:57], v[44:45], off
	global_store_dwordx2 v[56:57], v[46:47], off offset:8
	s_waitcnt vmcnt(4)
	global_store_dwordx4 v[58:59], v[48:51], off
	s_waitcnt vmcnt(4)
	global_store_dwordx4 v[60:61], v[52:55], off
	s_andn2_b64 exec, exec, s[52:53]
	s_cbranch_execnz .LBB16_35
; %bb.36:                               ;   in Loop: Header=BB16_9 Depth=1
	s_or_b64 exec, exec, s[52:53]
	s_mov_b64 s[4:5], 0
                                        ; implicit-def: $vgpr6_vgpr7
	s_and_saveexec_b64 s[52:53], s[2:3]
; %bb.37:                               ;   in Loop: Header=BB16_9 Depth=1
	v_mov_b32_e32 v17, v15
	s_mov_b64 s[4:5], exec
	v_mov_b64_e32 v[6:7], v[16:17]
; %bb.38:                               ;   in Loop: Header=BB16_9 Depth=1
	s_or_b64 exec, exec, s[52:53]
	s_orn2_b64 s[4:5], s[4:5], exec
	v_mov_b32_e32 v8, v16
.LBB16_39:                              ;   in Loop: Header=BB16_9 Depth=1
	s_or_b64 exec, exec, s[50:51]
	s_and_b64 exec, exec, s[4:5]
	s_cbranch_execz .LBB16_42
; %bb.40:                               ;   in Loop: Header=BB16_9 Depth=1
	v_lshlrev_b64 v[6:7], 4, v[6:7]
	s_mov_b64 s[50:51], 0
.LBB16_41:                              ;   Parent Loop BB16_9 Depth=1
                                        ; =>  This Inner Loop Header: Depth=2
	v_lshl_add_u64 v[10:11], v[32:33], 0, v[6:7]
	global_load_dwordx4 v[34:37], v[10:11], off
	v_add_u32_e32 v8, 32, v8
	v_cmp_le_i32_e64 s[4:5], s57, v8
	v_lshl_add_u64 v[10:11], v[18:19], 0, v[6:7]
	v_lshl_add_u64 v[6:7], v[6:7], 0, s[44:45]
	s_or_b64 s[50:51], s[4:5], s[50:51]
	s_waitcnt vmcnt(0)
	global_store_dwordx4 v[10:11], v[34:37], off
	s_andn2_b64 exec, exec, s[50:51]
	s_cbranch_execnz .LBB16_41
.LBB16_42:                              ;   in Loop: Header=BB16_9 Depth=1
	s_or_b64 exec, exec, s[48:49]
.LBB16_43:                              ;   in Loop: Header=BB16_9 Depth=1
	s_or_b64 exec, exec, s[46:47]
	v_lshl_add_u64 v[34:35], v[28:29], 1, s[26:27]
	v_and_b32_e32 v14, 15, v34
	v_cmp_ne_u64_e64 s[4:5], 0, v[14:15]
	v_lshl_add_u64 v[32:33], s[14:15], 0, v[26:27]
	v_lshl_add_u64 v[36:37], v[30:31], 1, s[6:7]
	s_or_b64 s[4:5], s[42:43], s[4:5]
	s_and_saveexec_b64 s[46:47], s[4:5]
	s_xor_b64 s[46:47], exec, s[46:47]
	s_cbranch_execz .LBB16_65
; %bb.44:                               ;   in Loop: Header=BB16_9 Depth=1
	v_sub_u32_e32 v6, 0, v34
	v_bfe_u32 v6, v6, 1, 3
	v_min_i32_e32 v28, s25, v6
	v_cmp_lt_i32_e64 s[4:5], v12, v28
	s_and_saveexec_b64 s[48:49], s[4:5]
	s_cbranch_execz .LBB16_46
; %bb.45:                               ;   in Loop: Header=BB16_9 Depth=1
	v_mov_b32_e32 v25, v15
	v_lshl_add_u64 v[6:7], v[34:35], 0, v[24:25]
	global_load_ushort v8, v[6:7], off
	v_lshl_add_u64 v[6:7], v[36:37], 0, v[24:25]
	s_waitcnt vmcnt(0)
	global_store_short v[6:7], v8, off
.LBB16_46:                              ;   in Loop: Header=BB16_9 Depth=1
	s_or_b64 exec, exec, s[48:49]
	v_sub_u32_e32 v17, s25, v28
	v_ashrrev_i32_e32 v6, 31, v17
	v_lshrrev_b32_e32 v6, 29, v6
	v_ashrrev_i32_e32 v29, 31, v28
	v_add_u32_e32 v6, v17, v6
	v_lshlrev_b64 v[10:11], 1, v[28:29]
	v_ashrrev_i32_e32 v21, 3, v6
	v_lshl_add_u64 v[30:31], v[34:35], 0, v[10:11]
	v_lshl_add_u64 v[34:35], v[36:37], 0, v[10:11]
	v_cmp_lt_i32_e64 s[4:5], v12, v21
	s_and_saveexec_b64 s[48:49], s[4:5]
	s_cbranch_execz .LBB16_56
; %bb.47:                               ;   in Loop: Header=BB16_9 Depth=1
	v_add_u32_e32 v8, v21, v42
	v_cmp_lt_u32_e64 s[4:5], s58, v8
	s_mov_b64 s[52:53], -1
	v_mov_b32_e32 v14, v12
	v_mov_b64_e32 v[6:7], v[12:13]
	s_and_saveexec_b64 s[50:51], s[4:5]
	s_cbranch_execz .LBB16_53
; %bb.48:                               ;   in Loop: Header=BB16_9 Depth=1
	v_lshrrev_b32_e32 v6, 5, v8
	v_add_u32_e32 v36, 1, v6
	v_and_b32_e32 v25, 0xffffffc, v36
	v_mov_b64_e32 v[8:9], v[4:5]
	s_mov_b64 s[52:53], 0
	v_mov_b32_e32 v37, v25
	v_mov_b64_e32 v[6:7], v[2:3]
.LBB16_49:                              ;   Parent Loop BB16_9 Depth=1
                                        ; =>  This Inner Loop Header: Depth=2
	v_mov_b32_e32 v14, v6
	v_lshlrev_b64 v[56:57], 4, v[14:15]
	v_mov_b32_e32 v14, v7
	v_lshlrev_b64 v[58:59], 4, v[14:15]
	;; [unrolled: 2-line block ×4, first 2 shown]
	v_lshl_add_u64 v[38:39], v[30:31], 0, v[56:57]
	v_lshl_add_u64 v[44:45], v[30:31], 0, v[58:59]
	;; [unrolled: 1-line block ×4, first 2 shown]
	global_load_dwordx4 v[38:41], v[38:39], off
	v_add_u32_e32 v37, -4, v37
	global_load_dwordx4 v[44:47], v[44:45], off
	s_nop 0
	global_load_dwordx4 v[48:51], v[48:49], off
	s_nop 0
	global_load_dwordx4 v[52:55], v[52:53], off
	v_cmp_eq_u32_e64 s[4:5], 0, v37
	v_add_u32_e32 v6, 0x80, v6
	v_add_u32_e32 v7, 0x80, v7
	v_lshl_add_u64 v[56:57], v[34:35], 0, v[56:57]
	v_add_u32_e32 v8, 0x80, v8
	s_or_b64 s[52:53], s[4:5], s[52:53]
	v_add_u32_e32 v9, 0x80, v9
	v_lshl_add_u64 v[58:59], v[34:35], 0, v[58:59]
	v_lshl_add_u64 v[60:61], v[34:35], 0, v[60:61]
	;; [unrolled: 1-line block ×3, first 2 shown]
	s_waitcnt vmcnt(3)
	global_store_dwordx4 v[56:57], v[38:41], off
	s_waitcnt vmcnt(3)
	global_store_dwordx2 v[58:59], v[44:45], off
	global_store_dwordx2 v[58:59], v[46:47], off offset:8
	s_waitcnt vmcnt(4)
	global_store_dwordx4 v[60:61], v[48:51], off
	s_waitcnt vmcnt(4)
	global_store_dwordx4 v[62:63], v[52:55], off
	s_andn2_b64 exec, exec, s[52:53]
	s_cbranch_execnz .LBB16_49
; %bb.50:                               ;   in Loop: Header=BB16_9 Depth=1
	s_or_b64 exec, exec, s[52:53]
	v_cmp_ne_u32_e64 s[4:5], v36, v25
	s_mov_b64 s[52:53], 0
                                        ; implicit-def: $vgpr6_vgpr7
	s_and_saveexec_b64 s[54:55], s[4:5]
; %bb.51:                               ;   in Loop: Header=BB16_9 Depth=1
	v_lshl_or_b32 v14, v25, 5, v12
	s_mov_b64 s[52:53], exec
	v_mov_b64_e32 v[6:7], v[14:15]
; %bb.52:                               ;   in Loop: Header=BB16_9 Depth=1
	s_or_b64 exec, exec, s[54:55]
	s_orn2_b64 s[52:53], s[52:53], exec
.LBB16_53:                              ;   in Loop: Header=BB16_9 Depth=1
	s_or_b64 exec, exec, s[50:51]
	s_and_b64 exec, exec, s[52:53]
	s_cbranch_execz .LBB16_56
; %bb.54:                               ;   in Loop: Header=BB16_9 Depth=1
	v_lshl_add_u64 v[8:9], v[6:7], 4, v[10:11]
	v_lshl_add_u64 v[6:7], v[22:23], 0, v[8:9]
	;; [unrolled: 1-line block ×4, first 2 shown]
	s_mov_b64 s[50:51], 0
.LBB16_55:                              ;   Parent Loop BB16_9 Depth=1
                                        ; =>  This Inner Loop Header: Depth=2
	global_load_dwordx4 v[36:39], v[8:9], off offset:-8
	v_add_u32_e32 v14, 32, v14
	v_cmp_ge_i32_e64 s[4:5], v14, v21
	v_lshl_add_u64 v[8:9], v[8:9], 0, s[44:45]
	s_or_b64 s[50:51], s[4:5], s[50:51]
	s_waitcnt vmcnt(0)
	global_store_dwordx4 v[6:7], v[36:39], off
	v_lshl_add_u64 v[6:7], v[6:7], 0, s[44:45]
	s_andn2_b64 exec, exec, s[50:51]
	s_cbranch_execnz .LBB16_55
.LBB16_56:                              ;   in Loop: Header=BB16_9 Depth=1
	s_or_b64 exec, exec, s[48:49]
	v_lshlrev_b32_e32 v7, 3, v21
	v_add_u32_e32 v6, v7, v12
	v_cmp_lt_i32_e64 s[4:5], v6, v17
	s_and_saveexec_b64 s[48:49], s[4:5]
	s_cbranch_execz .LBB16_64
; %bb.57:                               ;   in Loop: Header=BB16_9 Depth=1
	v_add_u32_e32 v8, v3, v7
	v_max_i32_e32 v8, v8, v17
	v_add_u32_e32 v8, v8, v42
	v_sub_u32_e32 v7, v8, v7
	v_cmp_lt_u32_e64 s[4:5], s58, v7
	s_mov_b64 s[52:53], -1
	s_and_saveexec_b64 s[50:51], s[4:5]
	s_cbranch_execz .LBB16_61
; %bb.58:                               ;   in Loop: Header=BB16_9 Depth=1
	v_lshrrev_b32_e32 v7, 5, v7
	v_add_u32_e32 v14, 1, v7
	v_add_u32_e32 v9, 0x60, v6
	;; [unrolled: 1-line block ×3, first 2 shown]
	v_and_b32_e32 v21, 0xffffffc, v14
	v_add_u32_e32 v7, 32, v6
	v_mov_b64_e32 v[10:11], v[8:9]
	s_mov_b64 s[52:53], 0
	v_mov_b32_e32 v25, v21
	v_mov_b64_e32 v[8:9], v[6:7]
.LBB16_59:                              ;   Parent Loop BB16_9 Depth=1
                                        ; =>  This Inner Loop Header: Depth=2
	v_ashrrev_i32_e32 v39, 31, v9
	v_mov_b32_e32 v38, v9
	v_ashrrev_i32_e32 v41, 31, v8
	v_mov_b32_e32 v40, v8
	;; [unrolled: 2-line block ×4, first 2 shown]
	v_lshlrev_b64 v[40:41], 1, v[40:41]
	v_lshlrev_b64 v[38:39], 1, v[38:39]
	;; [unrolled: 1-line block ×4, first 2 shown]
	v_lshl_add_u64 v[44:45], v[30:31], 0, v[40:41]
	v_lshl_add_u64 v[46:47], v[30:31], 0, v[38:39]
	;; [unrolled: 1-line block ×4, first 2 shown]
	global_load_ushort v7, v[44:45], off
	s_nop 0
	global_load_ushort v44, v[46:47], off
	global_load_ushort v45, v[48:49], off
	s_nop 0
	global_load_ushort v46, v[50:51], off
	v_add_u32_e32 v25, -4, v25
	v_cmp_eq_u32_e64 s[4:5], 0, v25
	v_add_u32_e32 v11, 0x80, v11
	v_add_u32_e32 v10, 0x80, v10
	;; [unrolled: 1-line block ×4, first 2 shown]
	v_lshl_add_u64 v[40:41], v[34:35], 0, v[40:41]
	s_or_b64 s[52:53], s[4:5], s[52:53]
	v_lshl_add_u64 v[38:39], v[34:35], 0, v[38:39]
	v_lshl_add_u64 v[36:37], v[34:35], 0, v[36:37]
	;; [unrolled: 1-line block ×3, first 2 shown]
	s_waitcnt vmcnt(3)
	global_store_short v[40:41], v7, off
	s_waitcnt vmcnt(3)
	global_store_short v[38:39], v44, off
	;; [unrolled: 2-line block ×4, first 2 shown]
	s_andn2_b64 exec, exec, s[52:53]
	s_cbranch_execnz .LBB16_59
; %bb.60:                               ;   in Loop: Header=BB16_9 Depth=1
	s_or_b64 exec, exec, s[52:53]
	v_cmp_ne_u32_e64 s[4:5], v14, v21
	v_lshl_add_u32 v6, v21, 5, v6
	s_orn2_b64 s[52:53], s[4:5], exec
.LBB16_61:                              ;   in Loop: Header=BB16_9 Depth=1
	s_or_b64 exec, exec, s[50:51]
	s_and_b64 exec, exec, s[52:53]
	s_cbranch_execz .LBB16_64
; %bb.62:                               ;   in Loop: Header=BB16_9 Depth=1
	v_ashrrev_i32_e32 v7, 31, v6
	v_lshlrev_b64 v[8:9], 1, v[6:7]
	v_lshl_add_u64 v[8:9], v[28:29], 1, v[8:9]
	s_mov_b64 s[50:51], 0
.LBB16_63:                              ;   Parent Loop BB16_9 Depth=1
                                        ; =>  This Inner Loop Header: Depth=2
	v_lshl_add_u64 v[10:11], v[32:33], 0, v[8:9]
	global_load_ushort v7, v[10:11], off
	v_add_u32_e32 v6, 32, v6
	v_cmp_ge_i32_e64 s[4:5], v6, v17
	v_lshl_add_u64 v[10:11], v[22:23], 0, v[8:9]
	v_lshl_add_u64 v[8:9], v[8:9], 0, 64
	s_or_b64 s[50:51], s[4:5], s[50:51]
	s_waitcnt vmcnt(0)
	global_store_short v[10:11], v7, off
	s_andn2_b64 exec, exec, s[50:51]
	s_cbranch_execnz .LBB16_63
.LBB16_64:                              ;   in Loop: Header=BB16_9 Depth=1
	s_or_b64 exec, exec, s[48:49]
                                        ; implicit-def: $vgpr32_vgpr33
                                        ; implicit-def: $vgpr34_vgpr35
                                        ; implicit-def: $vgpr36_vgpr37
.LBB16_65:                              ;   in Loop: Header=BB16_9 Depth=1
	s_andn2_saveexec_b64 s[46:47], s[46:47]
	s_cbranch_execz .LBB16_8
; %bb.66:                               ;   in Loop: Header=BB16_9 Depth=1
	s_and_saveexec_b64 s[48:49], vcc
	s_cbranch_execz .LBB16_7
; %bb.67:                               ;   in Loop: Header=BB16_9 Depth=1
	s_mov_b64 s[4:5], -1
	v_mov_b32_e32 v8, v12
	v_mov_b64_e32 v[6:7], v[12:13]
	s_and_saveexec_b64 s[50:51], s[0:1]
	s_cbranch_execz .LBB16_73
; %bb.68:                               ;   in Loop: Header=BB16_9 Depth=1
	v_mov_b64_e32 v[8:9], v[4:5]
	s_mov_b64 s[52:53], 0
	v_mov_b32_e32 v10, v43
	v_mov_b64_e32 v[6:7], v[2:3]
.LBB16_69:                              ;   Parent Loop BB16_9 Depth=1
                                        ; =>  This Inner Loop Header: Depth=2
	v_mov_b32_e32 v14, v6
	v_lshlrev_b64 v[30:31], 4, v[14:15]
	v_mov_b32_e32 v14, v7
	v_lshlrev_b64 v[52:53], 4, v[14:15]
	;; [unrolled: 2-line block ×4, first 2 shown]
	v_lshl_add_u64 v[26:27], v[34:35], 0, v[30:31]
	v_lshl_add_u64 v[38:39], v[34:35], 0, v[52:53]
	;; [unrolled: 1-line block ×4, first 2 shown]
	global_load_dwordx4 v[26:29], v[26:27], off
	v_add_u32_e32 v10, -4, v10
	global_load_dwordx4 v[38:41], v[38:39], off
	s_nop 0
	global_load_dwordx4 v[44:47], v[44:45], off
	s_nop 0
	global_load_dwordx4 v[48:51], v[48:49], off
	v_cmp_eq_u32_e64 s[4:5], 0, v10
	v_add_u32_e32 v6, 0x80, v6
	v_add_u32_e32 v7, 0x80, v7
	v_lshl_add_u64 v[30:31], v[36:37], 0, v[30:31]
	v_add_u32_e32 v8, 0x80, v8
	s_or_b64 s[52:53], s[4:5], s[52:53]
	v_add_u32_e32 v9, 0x80, v9
	v_lshl_add_u64 v[52:53], v[36:37], 0, v[52:53]
	v_lshl_add_u64 v[54:55], v[36:37], 0, v[54:55]
	;; [unrolled: 1-line block ×3, first 2 shown]
	s_waitcnt vmcnt(3)
	global_store_dwordx4 v[30:31], v[26:29], off
	s_waitcnt vmcnt(3)
	global_store_dwordx2 v[52:53], v[38:39], off
	global_store_dwordx2 v[52:53], v[40:41], off offset:8
	s_waitcnt vmcnt(4)
	global_store_dwordx4 v[54:55], v[44:47], off
	s_waitcnt vmcnt(4)
	global_store_dwordx4 v[56:57], v[48:51], off
	s_andn2_b64 exec, exec, s[52:53]
	s_cbranch_execnz .LBB16_69
; %bb.70:                               ;   in Loop: Header=BB16_9 Depth=1
	s_or_b64 exec, exec, s[52:53]
	s_mov_b64 s[4:5], 0
                                        ; implicit-def: $vgpr6_vgpr7
	s_and_saveexec_b64 s[52:53], s[2:3]
; %bb.71:                               ;   in Loop: Header=BB16_9 Depth=1
	v_mov_b32_e32 v17, v15
	s_mov_b64 s[4:5], exec
	v_mov_b64_e32 v[6:7], v[16:17]
; %bb.72:                               ;   in Loop: Header=BB16_9 Depth=1
	s_or_b64 exec, exec, s[52:53]
	s_orn2_b64 s[4:5], s[4:5], exec
	v_mov_b32_e32 v8, v16
.LBB16_73:                              ;   in Loop: Header=BB16_9 Depth=1
	s_or_b64 exec, exec, s[50:51]
	s_and_b64 exec, exec, s[4:5]
	s_cbranch_execz .LBB16_7
; %bb.74:                               ;   in Loop: Header=BB16_9 Depth=1
	v_lshlrev_b64 v[6:7], 4, v[6:7]
	s_mov_b64 s[50:51], 0
.LBB16_75:                              ;   Parent Loop BB16_9 Depth=1
                                        ; =>  This Inner Loop Header: Depth=2
	v_lshl_add_u64 v[10:11], v[32:33], 0, v[6:7]
	global_load_dwordx4 v[26:29], v[10:11], off
	v_add_u32_e32 v8, 32, v8
	v_cmp_le_i32_e64 s[4:5], s57, v8
	v_lshl_add_u64 v[10:11], v[22:23], 0, v[6:7]
	v_lshl_add_u64 v[6:7], v[6:7], 0, s[44:45]
	s_or_b64 s[50:51], s[4:5], s[50:51]
	s_waitcnt vmcnt(0)
	global_store_dwordx4 v[10:11], v[26:29], off
	s_andn2_b64 exec, exec, s[50:51]
	s_cbranch_execnz .LBB16_75
	s_branch .LBB16_7
.LBB16_76:
	s_or_b64 exec, exec, s[18:19]
	s_mov_b64 s[0:1], 0
.LBB16_77:
	s_andn2_b64 vcc, exec, s[0:1]
	s_cbranch_vccnz .LBB16_139
; %bb.78:
	s_and_b32 s0, s30, 15
	s_mov_b32 s1, 0
	s_mul_i32 s34, s25, s24
	s_cmp_lg_u64 s[0:1], 0
	s_cselect_b64 s[2:3], -1, 0
	s_and_b32 s4, s34, 7
	s_cmp_eq_u32 s4, 0
	s_cselect_b64 s[0:1], -1, 0
	s_cmp_lg_u32 s4, 0
	s_cselect_b64 s[4:5], -1, 0
	s_or_b64 s[4:5], s[2:3], s[4:5]
	s_mov_b64 s[2:3], -1
	s_and_b64 vcc, exec, s[4:5]
	s_cbranch_vccz .LBB16_99
; %bb.79:
	s_sub_i32 s2, 0, s30
	s_bfe_u32 s2, s2, 0x30001
	s_min_i32 s2, s2, s34
	v_cmp_gt_i32_e32 vcc, s2, v0
	s_and_saveexec_b64 s[4:5], vcc
	s_cbranch_execz .LBB16_82
; %bb.80:
	v_lshlrev_b32_e32 v2, 1, v0
	s_mov_b32 s13, 0
	v_mov_b32_e32 v3, 0
	s_lshl_b32 s12, s33, 1
	s_mov_b64 s[14:15], 0
	v_mov_b32_e32 v1, v0
.LBB16_81:                              ; =>This Inner Loop Header: Depth=1
	v_lshl_add_u64 v[4:5], s[30:31], 0, v[2:3]
	global_load_ushort v6, v[4:5], off
	v_add_u32_e32 v1, s33, v1
	v_cmp_le_i32_e32 vcc, s2, v1
	v_lshl_add_u64 v[4:5], s[16:17], 0, v[2:3]
	v_lshl_add_u64 v[2:3], v[2:3], 0, s[12:13]
	s_or_b64 s[14:15], vcc, s[14:15]
	s_waitcnt vmcnt(0)
	global_store_short v[4:5], v6, off
	s_andn2_b64 exec, exec, s[14:15]
	s_cbranch_execnz .LBB16_81
.LBB16_82:
	s_or_b64 exec, exec, s[4:5]
	s_ashr_i32 s3, s2, 31
	s_lshl_b64 s[18:19], s[2:3], 1
	s_add_u32 s4, s30, s18
	s_addc_u32 s5, s31, s19
	s_add_u32 s12, s16, s18
	s_addc_u32 s13, s17, s19
	s_sub_i32 s35, s34, s2
	s_ashr_i32 s14, s35, 31
	s_lshr_b32 s14, s14, 29
	s_add_i32 s14, s35, s14
	s_ashr_i32 s36, s14, 3
	v_cmp_gt_i32_e32 vcc, s36, v0
	s_and_saveexec_b64 s[14:15], vcc
	s_cbranch_execz .LBB16_90
; %bb.83:
	v_add_u32_e32 v1, 1, v0
	v_max_i32_e32 v2, s36, v1
	s_and_b32 s20, s33, 0xffff
	v_sub_u32_e32 v8, v2, v0
	s_cmp_eq_u32 s20, 1
	v_cmp_lt_u32_e32 vcc, 3, v8
	s_cselect_b64 s[20:21], -1, 0
	s_and_b64 s[38:39], vcc, s[20:21]
	s_mov_b64 s[24:25], -1
	v_mov_b32_e32 v2, v0
	s_and_saveexec_b64 s[20:21], s[38:39]
	s_cbranch_execz .LBB16_87
; %bb.84:
	v_add_u32_e32 v3, 3, v0
	v_add_u32_e32 v2, 2, v0
	v_and_b32_e32 v9, -4, v8
	v_mov_b64_e32 v[4:5], v[2:3]
	s_mov_b64 s[24:25], 0
	v_mov_b32_e32 v7, 0
	v_mov_b32_e32 v10, v9
	v_mov_b64_e32 v[2:3], v[0:1]
.LBB16_85:                              ; =>This Inner Loop Header: Depth=1
	v_mov_b32_e32 v6, v2
	v_lshlrev_b64 v[28:29], 4, v[6:7]
	v_mov_b32_e32 v6, v3
	v_lshlrev_b64 v[30:31], 4, v[6:7]
	;; [unrolled: 2-line block ×3, first 2 shown]
	v_mov_b32_e32 v6, v5
	v_lshl_add_u64 v[12:13], s[4:5], 0, v[28:29]
	v_lshl_add_u64 v[16:17], s[4:5], 0, v[30:31]
	;; [unrolled: 1-line block ×3, first 2 shown]
	v_lshlrev_b64 v[36:37], 4, v[6:7]
	global_load_dwordx4 v[12:15], v[12:13], off
	v_lshl_add_u64 v[38:39], s[4:5], 0, v[36:37]
	global_load_dwordx4 v[16:19], v[16:17], off
	s_nop 0
	global_load_dwordx4 v[20:23], v[34:35], off
	global_load_dwordx4 v[24:27], v[38:39], off
	v_add_u32_e32 v10, -4, v10
	v_cmp_eq_u32_e32 vcc, 0, v10
	v_add_u32_e32 v2, 4, v2
	v_add_u32_e32 v3, 4, v3
	v_lshl_add_u64 v[28:29], s[12:13], 0, v[28:29]
	v_add_u32_e32 v4, 4, v4
	s_or_b64 s[24:25], vcc, s[24:25]
	v_add_u32_e32 v5, 4, v5
	v_lshl_add_u64 v[30:31], s[12:13], 0, v[30:31]
	v_lshl_add_u64 v[32:33], s[12:13], 0, v[32:33]
	;; [unrolled: 1-line block ×3, first 2 shown]
	s_waitcnt vmcnt(3)
	global_store_dwordx4 v[28:29], v[12:15], off
	s_waitcnt vmcnt(3)
	global_store_dwordx2 v[30:31], v[16:17], off
	global_store_dwordx2 v[30:31], v[18:19], off offset:8
	s_waitcnt vmcnt(4)
	global_store_dwordx4 v[32:33], v[20:23], off
	s_waitcnt vmcnt(4)
	global_store_dwordx4 v[34:35], v[24:27], off
	s_andn2_b64 exec, exec, s[24:25]
	s_cbranch_execnz .LBB16_85
; %bb.86:
	s_or_b64 exec, exec, s[24:25]
	v_cmp_ne_u32_e32 vcc, v8, v9
	v_add_u32_e32 v2, v0, v9
	s_orn2_b64 s[24:25], vcc, exec
.LBB16_87:
	s_or_b64 exec, exec, s[20:21]
	s_and_b64 exec, exec, s[24:25]
	s_cbranch_execz .LBB16_90
; %bb.88:
	v_mov_b32_e32 v3, 0
	s_lshl_b32 s20, s33, 4
	v_lshl_add_u64 v[4:5], v[2:3], 4, s[18:19]
	s_add_u32 s18, s8, s28
	s_addc_u32 s19, s9, s29
	s_add_u32 s18, s18, 8
	s_mov_b32 s21, 0
	s_addc_u32 s19, s19, 0
	s_mov_b64 s[24:25], 0
.LBB16_89:                              ; =>This Inner Loop Header: Depth=1
	v_lshl_add_u64 v[6:7], s[18:19], 0, v[4:5]
	global_load_dwordx4 v[6:9], v[6:7], off offset:-8
	v_add_u32_e32 v2, s33, v2
	v_cmp_le_i32_e32 vcc, s36, v2
	v_lshl_add_u64 v[10:11], s[16:17], 0, v[4:5]
	v_lshl_add_u64 v[4:5], v[4:5], 0, s[20:21]
	s_or_b64 s[24:25], vcc, s[24:25]
	s_waitcnt vmcnt(0)
	global_store_dwordx4 v[10:11], v[6:9], off
	s_andn2_b64 exec, exec, s[24:25]
	s_cbranch_execnz .LBB16_89
.LBB16_90:
	s_or_b64 exec, exec, s[14:15]
	v_lshl_add_u32 v2, s36, 3, v0
	v_cmp_gt_i32_e32 vcc, s35, v2
	s_and_saveexec_b64 s[14:15], vcc
	s_cbranch_execz .LBB16_98
; %bb.91:
	v_add_u32_e32 v1, 1, v2
	v_max_i32_e32 v1, s35, v1
	s_and_b32 s18, s33, 0xffff
	v_sub_u32_e32 v1, v1, v2
	s_cmp_eq_u32 s18, 1
	v_cmp_lt_u32_e32 vcc, 7, v1
	s_cselect_b64 s[18:19], -1, 0
	s_and_b64 s[24:25], vcc, s[18:19]
	s_mov_b64 s[20:21], -1
	s_and_saveexec_b64 s[18:19], s[24:25]
	s_cbranch_execz .LBB16_95
; %bb.92:
	v_and_b32_e32 v3, -8, v1
	s_mov_b64 s[20:21], 0
	v_mov_b32_e32 v4, v2
	v_mov_b32_e32 v6, v3
.LBB16_93:                              ; =>This Inner Loop Header: Depth=1
	v_ashrrev_i32_e32 v5, 31, v4
	v_lshlrev_b64 v[12:13], 1, v[4:5]
	v_lshl_add_u64 v[8:9], s[4:5], 0, v[12:13]
	global_load_dwordx4 v[8:11], v[8:9], off
	v_add_u32_e32 v6, -8, v6
	v_cmp_eq_u32_e32 vcc, 0, v6
	v_lshl_add_u64 v[12:13], s[12:13], 0, v[12:13]
	s_or_b64 s[20:21], vcc, s[20:21]
	v_add_u32_e32 v4, 8, v4
	s_waitcnt vmcnt(0)
	global_store_dwordx4 v[12:13], v[8:11], off
	s_andn2_b64 exec, exec, s[20:21]
	s_cbranch_execnz .LBB16_93
; %bb.94:
	s_or_b64 exec, exec, s[20:21]
	v_cmp_ne_u32_e32 vcc, v1, v3
	v_add_u32_e32 v2, v2, v3
	s_orn2_b64 s[20:21], vcc, exec
.LBB16_95:
	s_or_b64 exec, exec, s[18:19]
	s_and_b64 exec, exec, s[20:21]
	s_cbranch_execz .LBB16_98
; %bb.96:
	v_ashrrev_i32_e32 v3, 31, v2
	v_lshlrev_b64 v[4:5], 1, v[2:3]
	v_lshl_add_u64 v[4:5], s[2:3], 1, v[4:5]
	s_lshl_b32 s2, s33, 1
	s_mov_b32 s3, 0
	s_mov_b64 s[4:5], 0
.LBB16_97:                              ; =>This Inner Loop Header: Depth=1
	v_lshl_add_u64 v[6:7], s[30:31], 0, v[4:5]
	global_load_ushort v1, v[6:7], off
	v_add_u32_e32 v2, s33, v2
	v_cmp_le_i32_e32 vcc, s35, v2
	v_lshl_add_u64 v[6:7], s[16:17], 0, v[4:5]
	v_lshl_add_u64 v[4:5], v[4:5], 0, s[2:3]
	s_or_b64 s[4:5], vcc, s[4:5]
	s_waitcnt vmcnt(0)
	global_store_short v[6:7], v1, off
	s_andn2_b64 exec, exec, s[4:5]
	s_cbranch_execnz .LBB16_97
.LBB16_98:
	s_or_b64 exec, exec, s[14:15]
	s_mov_b64 s[2:3], 0
.LBB16_99:
	s_and_b64 vcc, exec, s[2:3]
	s_cbranch_vccz .LBB16_109
; %bb.100:
	s_ashr_i32 s14, s34, 3
	v_cmp_gt_i32_e32 vcc, s14, v0
	s_and_saveexec_b64 s[2:3], vcc
	s_cbranch_execz .LBB16_108
; %bb.101:
	v_add_u32_e32 v1, 1, v0
	v_max_i32_e32 v2, s14, v1
	s_and_b32 s4, s33, 0xffff
	v_sub_u32_e32 v8, v2, v0
	s_cmp_eq_u32 s4, 1
	v_cmp_lt_u32_e32 vcc, 3, v8
	s_cselect_b64 s[4:5], -1, 0
	s_and_b64 s[18:19], vcc, s[4:5]
	s_mov_b64 s[12:13], -1
	v_mov_b32_e32 v2, v0
	s_and_saveexec_b64 s[4:5], s[18:19]
	s_cbranch_execz .LBB16_105
; %bb.102:
	v_add_u32_e32 v3, 3, v0
	v_add_u32_e32 v2, 2, v0
	v_and_b32_e32 v9, -4, v8
	v_mov_b64_e32 v[4:5], v[2:3]
	s_mov_b64 s[12:13], 0
	v_mov_b32_e32 v7, 0
	v_mov_b32_e32 v10, v9
	v_mov_b64_e32 v[2:3], v[0:1]
.LBB16_103:                             ; =>This Inner Loop Header: Depth=1
	v_mov_b32_e32 v6, v2
	v_lshlrev_b64 v[28:29], 4, v[6:7]
	v_mov_b32_e32 v6, v3
	v_lshlrev_b64 v[30:31], 4, v[6:7]
	v_mov_b32_e32 v6, v4
	v_lshlrev_b64 v[32:33], 4, v[6:7]
	v_mov_b32_e32 v6, v5
	v_lshl_add_u64 v[12:13], s[30:31], 0, v[28:29]
	v_lshl_add_u64 v[16:17], s[30:31], 0, v[30:31]
	;; [unrolled: 1-line block ×3, first 2 shown]
	v_lshlrev_b64 v[36:37], 4, v[6:7]
	global_load_dwordx4 v[12:15], v[12:13], off
	v_lshl_add_u64 v[38:39], s[30:31], 0, v[36:37]
	global_load_dwordx4 v[16:19], v[16:17], off
	s_nop 0
	global_load_dwordx4 v[20:23], v[34:35], off
	global_load_dwordx4 v[24:27], v[38:39], off
	v_add_u32_e32 v10, -4, v10
	v_cmp_eq_u32_e32 vcc, 0, v10
	v_add_u32_e32 v2, 4, v2
	v_add_u32_e32 v3, 4, v3
	v_lshl_add_u64 v[28:29], s[16:17], 0, v[28:29]
	v_add_u32_e32 v4, 4, v4
	s_or_b64 s[12:13], vcc, s[12:13]
	v_add_u32_e32 v5, 4, v5
	v_lshl_add_u64 v[30:31], s[16:17], 0, v[30:31]
	v_lshl_add_u64 v[32:33], s[16:17], 0, v[32:33]
	;; [unrolled: 1-line block ×3, first 2 shown]
	s_waitcnt vmcnt(3)
	global_store_dwordx4 v[28:29], v[12:15], off
	s_waitcnt vmcnt(3)
	global_store_dwordx2 v[30:31], v[16:17], off
	global_store_dwordx2 v[30:31], v[18:19], off offset:8
	s_waitcnt vmcnt(4)
	global_store_dwordx4 v[32:33], v[20:23], off
	s_waitcnt vmcnt(4)
	global_store_dwordx4 v[34:35], v[24:27], off
	s_andn2_b64 exec, exec, s[12:13]
	s_cbranch_execnz .LBB16_103
; %bb.104:
	s_or_b64 exec, exec, s[12:13]
	v_cmp_ne_u32_e32 vcc, v8, v9
	v_add_u32_e32 v2, v0, v9
	s_orn2_b64 s[12:13], vcc, exec
.LBB16_105:
	s_or_b64 exec, exec, s[4:5]
	s_and_b64 exec, exec, s[12:13]
	s_cbranch_execz .LBB16_108
; %bb.106:
	s_lshl_b32 s4, s33, 4
	s_add_u32 s8, s8, s28
	s_addc_u32 s9, s9, s29
	v_mov_b32_e32 v3, 0
	s_add_u32 s8, s8, 8
	s_mov_b32 s5, 0
	v_lshlrev_b64 v[4:5], 4, v[2:3]
	s_addc_u32 s9, s9, 0
	s_mov_b64 s[12:13], 0
.LBB16_107:                             ; =>This Inner Loop Header: Depth=1
	v_lshl_add_u64 v[6:7], s[8:9], 0, v[4:5]
	global_load_dwordx4 v[6:9], v[6:7], off offset:-8
	v_add_u32_e32 v2, s33, v2
	v_cmp_le_i32_e32 vcc, s14, v2
	v_lshl_add_u64 v[10:11], s[16:17], 0, v[4:5]
	v_lshl_add_u64 v[4:5], v[4:5], 0, s[4:5]
	s_or_b64 s[12:13], vcc, s[12:13]
	s_waitcnt vmcnt(0)
	global_store_dwordx4 v[10:11], v[6:9], off
	s_andn2_b64 exec, exec, s[12:13]
	s_cbranch_execnz .LBB16_107
.LBB16_108:
	s_or_b64 exec, exec, s[2:3]
.LBB16_109:
	s_and_b32 s2, s26, 15
	s_mov_b32 s3, 0
	s_cmp_lg_u64 s[2:3], 0
	s_cselect_b64 s[4:5], -1, 0
	s_xor_b64 s[0:1], s[0:1], -1
	s_or_b64 s[0:1], s[0:1], s[4:5]
	s_mov_b64 s[2:3], -1
	s_and_b64 vcc, exec, s[0:1]
	s_cbranch_vccz .LBB16_130
; %bb.110:
	s_sub_i32 s0, 0, s26
	s_bfe_u32 s0, s0, 0x30001
	s_min_i32 s0, s0, s34
	v_cmp_gt_i32_e32 vcc, s0, v0
	s_and_saveexec_b64 s[2:3], vcc
	s_cbranch_execz .LBB16_113
; %bb.111:
	v_lshlrev_b32_e32 v2, 1, v0
	s_mov_b32 s5, 0
	v_mov_b32_e32 v3, 0
	s_lshl_b32 s4, s33, 1
	s_mov_b64 s[8:9], 0
	v_mov_b32_e32 v1, v0
.LBB16_112:                             ; =>This Inner Loop Header: Depth=1
	v_lshl_add_u64 v[4:5], s[26:27], 0, v[2:3]
	global_load_ushort v6, v[4:5], off
	v_add_u32_e32 v1, s33, v1
	v_cmp_le_i32_e32 vcc, s0, v1
	v_lshl_add_u64 v[4:5], s[6:7], 0, v[2:3]
	v_lshl_add_u64 v[2:3], v[2:3], 0, s[4:5]
	s_or_b64 s[8:9], vcc, s[8:9]
	s_waitcnt vmcnt(0)
	global_store_short v[4:5], v6, off
	s_andn2_b64 exec, exec, s[8:9]
	s_cbranch_execnz .LBB16_112
.LBB16_113:
	s_or_b64 exec, exec, s[2:3]
	s_ashr_i32 s1, s0, 31
	s_lshl_b64 s[12:13], s[0:1], 1
	s_add_u32 s2, s26, s12
	s_addc_u32 s3, s27, s13
	s_add_u32 s4, s6, s12
	s_addc_u32 s5, s7, s13
	s_sub_i32 s18, s34, s0
	s_ashr_i32 s8, s18, 31
	s_lshr_b32 s8, s8, 29
	s_add_i32 s8, s18, s8
	s_ashr_i32 s19, s8, 3
	v_cmp_gt_i32_e32 vcc, s19, v0
	s_and_saveexec_b64 s[8:9], vcc
	s_cbranch_execz .LBB16_121
; %bb.114:
	v_add_u32_e32 v1, 1, v0
	v_max_i32_e32 v2, s19, v1
	s_and_b32 s14, s33, 0xffff
	v_sub_u32_e32 v8, v2, v0
	s_cmp_eq_u32 s14, 1
	v_cmp_lt_u32_e32 vcc, 3, v8
	s_cselect_b64 s[14:15], -1, 0
	s_and_b64 s[20:21], vcc, s[14:15]
	s_mov_b64 s[16:17], -1
	v_mov_b32_e32 v2, v0
	s_and_saveexec_b64 s[14:15], s[20:21]
	s_cbranch_execz .LBB16_118
; %bb.115:
	v_add_u32_e32 v3, 3, v0
	v_add_u32_e32 v2, 2, v0
	v_and_b32_e32 v9, -4, v8
	v_mov_b64_e32 v[4:5], v[2:3]
	s_mov_b64 s[16:17], 0
	v_mov_b32_e32 v7, 0
	v_mov_b32_e32 v10, v9
	v_mov_b64_e32 v[2:3], v[0:1]
.LBB16_116:                             ; =>This Inner Loop Header: Depth=1
	v_mov_b32_e32 v6, v2
	v_lshlrev_b64 v[28:29], 4, v[6:7]
	v_mov_b32_e32 v6, v3
	v_lshlrev_b64 v[30:31], 4, v[6:7]
	;; [unrolled: 2-line block ×3, first 2 shown]
	v_mov_b32_e32 v6, v5
	v_lshl_add_u64 v[12:13], s[2:3], 0, v[28:29]
	v_lshl_add_u64 v[16:17], s[2:3], 0, v[30:31]
	;; [unrolled: 1-line block ×3, first 2 shown]
	v_lshlrev_b64 v[36:37], 4, v[6:7]
	global_load_dwordx4 v[12:15], v[12:13], off
	v_lshl_add_u64 v[38:39], s[2:3], 0, v[36:37]
	global_load_dwordx4 v[16:19], v[16:17], off
	s_nop 0
	global_load_dwordx4 v[20:23], v[34:35], off
	global_load_dwordx4 v[24:27], v[38:39], off
	v_add_u32_e32 v10, -4, v10
	v_cmp_eq_u32_e32 vcc, 0, v10
	v_add_u32_e32 v2, 4, v2
	v_add_u32_e32 v3, 4, v3
	v_lshl_add_u64 v[28:29], s[4:5], 0, v[28:29]
	v_add_u32_e32 v4, 4, v4
	s_or_b64 s[16:17], vcc, s[16:17]
	v_add_u32_e32 v5, 4, v5
	v_lshl_add_u64 v[30:31], s[4:5], 0, v[30:31]
	v_lshl_add_u64 v[32:33], s[4:5], 0, v[32:33]
	;; [unrolled: 1-line block ×3, first 2 shown]
	s_waitcnt vmcnt(3)
	global_store_dwordx4 v[28:29], v[12:15], off
	s_waitcnt vmcnt(3)
	global_store_dwordx2 v[30:31], v[16:17], off
	global_store_dwordx2 v[30:31], v[18:19], off offset:8
	s_waitcnt vmcnt(4)
	global_store_dwordx4 v[32:33], v[20:23], off
	s_waitcnt vmcnt(4)
	global_store_dwordx4 v[34:35], v[24:27], off
	s_andn2_b64 exec, exec, s[16:17]
	s_cbranch_execnz .LBB16_116
; %bb.117:
	s_or_b64 exec, exec, s[16:17]
	v_cmp_ne_u32_e32 vcc, v8, v9
	v_add_u32_e32 v2, v0, v9
	s_orn2_b64 s[16:17], vcc, exec
.LBB16_118:
	s_or_b64 exec, exec, s[14:15]
	s_and_b64 exec, exec, s[16:17]
	s_cbranch_execz .LBB16_121
; %bb.119:
	v_mov_b32_e32 v3, 0
	s_lshl_b32 s14, s33, 4
	v_lshl_add_u64 v[4:5], v[2:3], 4, s[12:13]
	s_add_u32 s12, s10, s22
	s_addc_u32 s13, s11, s23
	s_add_u32 s12, s12, 8
	s_mov_b32 s15, 0
	s_addc_u32 s13, s13, 0
	s_mov_b64 s[16:17], 0
.LBB16_120:                             ; =>This Inner Loop Header: Depth=1
	v_lshl_add_u64 v[6:7], s[12:13], 0, v[4:5]
	global_load_dwordx4 v[6:9], v[6:7], off offset:-8
	v_add_u32_e32 v2, s33, v2
	v_cmp_le_i32_e32 vcc, s19, v2
	v_lshl_add_u64 v[10:11], s[6:7], 0, v[4:5]
	v_lshl_add_u64 v[4:5], v[4:5], 0, s[14:15]
	s_or_b64 s[16:17], vcc, s[16:17]
	s_waitcnt vmcnt(0)
	global_store_dwordx4 v[10:11], v[6:9], off
	s_andn2_b64 exec, exec, s[16:17]
	s_cbranch_execnz .LBB16_120
.LBB16_121:
	s_or_b64 exec, exec, s[8:9]
	v_lshl_add_u32 v2, s19, 3, v0
	v_cmp_gt_i32_e32 vcc, s18, v2
	s_and_saveexec_b64 s[8:9], vcc
	s_cbranch_execz .LBB16_129
; %bb.122:
	v_add_u32_e32 v1, 1, v2
	v_max_i32_e32 v1, s18, v1
	s_and_b32 s12, s33, 0xffff
	v_sub_u32_e32 v1, v1, v2
	s_cmp_eq_u32 s12, 1
	v_cmp_lt_u32_e32 vcc, 7, v1
	s_cselect_b64 s[12:13], -1, 0
	s_and_b64 s[16:17], vcc, s[12:13]
	s_mov_b64 s[14:15], -1
	s_and_saveexec_b64 s[12:13], s[16:17]
	s_cbranch_execz .LBB16_126
; %bb.123:
	v_and_b32_e32 v3, -8, v1
	s_mov_b64 s[14:15], 0
	v_mov_b32_e32 v4, v2
	v_mov_b32_e32 v6, v3
.LBB16_124:                             ; =>This Inner Loop Header: Depth=1
	v_ashrrev_i32_e32 v5, 31, v4
	v_lshlrev_b64 v[12:13], 1, v[4:5]
	v_lshl_add_u64 v[8:9], s[2:3], 0, v[12:13]
	global_load_dwordx4 v[8:11], v[8:9], off
	v_add_u32_e32 v6, -8, v6
	v_cmp_eq_u32_e32 vcc, 0, v6
	v_lshl_add_u64 v[12:13], s[4:5], 0, v[12:13]
	s_or_b64 s[14:15], vcc, s[14:15]
	v_add_u32_e32 v4, 8, v4
	s_waitcnt vmcnt(0)
	global_store_dwordx4 v[12:13], v[8:11], off
	s_andn2_b64 exec, exec, s[14:15]
	s_cbranch_execnz .LBB16_124
; %bb.125:
	s_or_b64 exec, exec, s[14:15]
	v_cmp_ne_u32_e32 vcc, v1, v3
	v_add_u32_e32 v2, v2, v3
	s_orn2_b64 s[14:15], vcc, exec
.LBB16_126:
	s_or_b64 exec, exec, s[12:13]
	s_and_b64 exec, exec, s[14:15]
	s_cbranch_execz .LBB16_129
; %bb.127:
	v_ashrrev_i32_e32 v3, 31, v2
	v_lshlrev_b64 v[4:5], 1, v[2:3]
	v_lshl_add_u64 v[4:5], s[0:1], 1, v[4:5]
	s_lshl_b32 s0, s33, 1
	s_mov_b32 s1, 0
	s_mov_b64 s[2:3], 0
.LBB16_128:                             ; =>This Inner Loop Header: Depth=1
	v_lshl_add_u64 v[6:7], s[26:27], 0, v[4:5]
	global_load_ushort v1, v[6:7], off
	v_add_u32_e32 v2, s33, v2
	v_cmp_le_i32_e32 vcc, s18, v2
	v_lshl_add_u64 v[6:7], s[6:7], 0, v[4:5]
	v_lshl_add_u64 v[4:5], v[4:5], 0, s[0:1]
	s_or_b64 s[2:3], vcc, s[2:3]
	s_waitcnt vmcnt(0)
	global_store_short v[6:7], v1, off
	s_andn2_b64 exec, exec, s[2:3]
	s_cbranch_execnz .LBB16_128
.LBB16_129:
	s_or_b64 exec, exec, s[8:9]
	s_mov_b64 s[2:3], 0
.LBB16_130:
	s_and_b64 vcc, exec, s[2:3]
	s_cbranch_vccz .LBB16_139
; %bb.131:
	s_ashr_i32 s8, s34, 3
	v_cmp_gt_i32_e32 vcc, s8, v0
	s_and_saveexec_b64 s[0:1], vcc
	s_cbranch_execz .LBB16_139
; %bb.132:
	v_add_u32_e32 v1, 1, v0
	v_max_i32_e32 v2, s8, v1
	s_and_b32 s0, s33, 0xffff
	v_sub_u32_e32 v8, v2, v0
	s_cmp_eq_u32 s0, 1
	v_cmp_lt_u32_e32 vcc, 3, v8
	s_cselect_b64 s[0:1], -1, 0
	s_and_b64 s[4:5], vcc, s[0:1]
	s_mov_b64 s[2:3], -1
	s_and_saveexec_b64 s[0:1], s[4:5]
	s_cbranch_execz .LBB16_136
; %bb.133:
	v_add_u32_e32 v3, 3, v0
	v_add_u32_e32 v2, 2, v0
	v_and_b32_e32 v9, -4, v8
	v_mov_b64_e32 v[4:5], v[2:3]
	s_mov_b64 s[2:3], 0
	v_mov_b32_e32 v7, 0
	v_mov_b32_e32 v10, v9
	v_mov_b64_e32 v[2:3], v[0:1]
.LBB16_134:                             ; =>This Inner Loop Header: Depth=1
	v_mov_b32_e32 v6, v2
	v_lshlrev_b64 v[28:29], 4, v[6:7]
	v_mov_b32_e32 v6, v3
	v_lshlrev_b64 v[30:31], 4, v[6:7]
	;; [unrolled: 2-line block ×3, first 2 shown]
	v_mov_b32_e32 v6, v5
	v_lshl_add_u64 v[12:13], s[26:27], 0, v[28:29]
	v_lshl_add_u64 v[16:17], s[26:27], 0, v[30:31]
	;; [unrolled: 1-line block ×3, first 2 shown]
	v_lshlrev_b64 v[36:37], 4, v[6:7]
	global_load_dwordx4 v[12:15], v[12:13], off
	v_lshl_add_u64 v[38:39], s[26:27], 0, v[36:37]
	global_load_dwordx4 v[16:19], v[16:17], off
	s_nop 0
	global_load_dwordx4 v[20:23], v[34:35], off
	global_load_dwordx4 v[24:27], v[38:39], off
	v_add_u32_e32 v10, -4, v10
	v_cmp_eq_u32_e32 vcc, 0, v10
	v_add_u32_e32 v2, 4, v2
	v_add_u32_e32 v3, 4, v3
	v_lshl_add_u64 v[28:29], s[6:7], 0, v[28:29]
	v_add_u32_e32 v4, 4, v4
	s_or_b64 s[2:3], vcc, s[2:3]
	v_add_u32_e32 v5, 4, v5
	v_lshl_add_u64 v[30:31], s[6:7], 0, v[30:31]
	v_lshl_add_u64 v[32:33], s[6:7], 0, v[32:33]
	v_lshl_add_u64 v[34:35], s[6:7], 0, v[36:37]
	s_waitcnt vmcnt(3)
	global_store_dwordx4 v[28:29], v[12:15], off
	s_waitcnt vmcnt(3)
	global_store_dwordx2 v[30:31], v[16:17], off
	global_store_dwordx2 v[30:31], v[18:19], off offset:8
	s_waitcnt vmcnt(4)
	global_store_dwordx4 v[32:33], v[20:23], off
	s_waitcnt vmcnt(4)
	global_store_dwordx4 v[34:35], v[24:27], off
	s_andn2_b64 exec, exec, s[2:3]
	s_cbranch_execnz .LBB16_134
; %bb.135:
	s_or_b64 exec, exec, s[2:3]
	v_cmp_ne_u32_e32 vcc, v8, v9
	v_add_u32_e32 v0, v0, v9
	s_orn2_b64 s[2:3], vcc, exec
.LBB16_136:
	s_or_b64 exec, exec, s[0:1]
	s_and_b64 exec, exec, s[2:3]
	s_cbranch_execz .LBB16_139
; %bb.137:
	s_lshl_b32 s0, s33, 4
	s_add_u32 s2, s10, s22
	s_addc_u32 s3, s11, s23
	v_mov_b32_e32 v1, 0
	s_add_u32 s2, s2, 8
	s_mov_b32 s1, 0
	v_lshlrev_b64 v[2:3], 4, v[0:1]
	s_addc_u32 s3, s3, 0
	s_mov_b64 s[4:5], 0
.LBB16_138:                             ; =>This Inner Loop Header: Depth=1
	v_lshl_add_u64 v[4:5], s[2:3], 0, v[2:3]
	global_load_dwordx4 v[4:7], v[4:5], off offset:-8
	v_add_u32_e32 v0, s33, v0
	v_cmp_le_i32_e32 vcc, s8, v0
	v_lshl_add_u64 v[8:9], s[6:7], 0, v[2:3]
	v_lshl_add_u64 v[2:3], v[2:3], 0, s[0:1]
	s_or_b64 s[4:5], vcc, s[4:5]
	s_waitcnt vmcnt(0)
	global_store_dwordx4 v[8:9], v[4:7], off
	s_andn2_b64 exec, exec, s[4:5]
	s_cbranch_execnz .LBB16_138
.LBB16_139:
	s_endpgm
.LBB16_140:
                                        ; implicit-def: $sgpr6_sgpr7
	s_branch .LBB16_3
	.section	.rodata,"a",@progbits
	.p2align	6, 0x0
	.amdhsa_kernel _ZN4vllm30reshape_and_cache_flash_kernelI14__hip_bfloat16S1_LNS_18Fp8KVCacheDataTypeE0EEEvPKT_S5_PT0_S7_PKlllllliiiPKfSB_
		.amdhsa_group_segment_fixed_size 0
		.amdhsa_private_segment_fixed_size 0
		.amdhsa_kernarg_size 368
		.amdhsa_user_sgpr_count 2
		.amdhsa_user_sgpr_dispatch_ptr 0
		.amdhsa_user_sgpr_queue_ptr 0
		.amdhsa_user_sgpr_kernarg_segment_ptr 1
		.amdhsa_user_sgpr_dispatch_id 0
		.amdhsa_user_sgpr_kernarg_preload_length 0
		.amdhsa_user_sgpr_kernarg_preload_offset 0
		.amdhsa_user_sgpr_private_segment_size 0
		.amdhsa_uses_dynamic_stack 0
		.amdhsa_enable_private_segment 0
		.amdhsa_system_sgpr_workgroup_id_x 1
		.amdhsa_system_sgpr_workgroup_id_y 0
		.amdhsa_system_sgpr_workgroup_id_z 0
		.amdhsa_system_sgpr_workgroup_info 0
		.amdhsa_system_vgpr_workitem_id 0
		.amdhsa_next_free_vgpr 68
		.amdhsa_next_free_sgpr 60
		.amdhsa_accum_offset 68
		.amdhsa_reserve_vcc 1
		.amdhsa_float_round_mode_32 0
		.amdhsa_float_round_mode_16_64 0
		.amdhsa_float_denorm_mode_32 3
		.amdhsa_float_denorm_mode_16_64 3
		.amdhsa_dx10_clamp 1
		.amdhsa_ieee_mode 1
		.amdhsa_fp16_overflow 0
		.amdhsa_tg_split 0
		.amdhsa_exception_fp_ieee_invalid_op 0
		.amdhsa_exception_fp_denorm_src 0
		.amdhsa_exception_fp_ieee_div_zero 0
		.amdhsa_exception_fp_ieee_overflow 0
		.amdhsa_exception_fp_ieee_underflow 0
		.amdhsa_exception_fp_ieee_inexact 0
		.amdhsa_exception_int_div_zero 0
	.end_amdhsa_kernel
	.section	.text._ZN4vllm30reshape_and_cache_flash_kernelI14__hip_bfloat16S1_LNS_18Fp8KVCacheDataTypeE0EEEvPKT_S5_PT0_S7_PKlllllliiiPKfSB_,"axG",@progbits,_ZN4vllm30reshape_and_cache_flash_kernelI14__hip_bfloat16S1_LNS_18Fp8KVCacheDataTypeE0EEEvPKT_S5_PT0_S7_PKlllllliiiPKfSB_,comdat
.Lfunc_end16:
	.size	_ZN4vllm30reshape_and_cache_flash_kernelI14__hip_bfloat16S1_LNS_18Fp8KVCacheDataTypeE0EEEvPKT_S5_PT0_S7_PKlllllliiiPKfSB_, .Lfunc_end16-_ZN4vllm30reshape_and_cache_flash_kernelI14__hip_bfloat16S1_LNS_18Fp8KVCacheDataTypeE0EEEvPKT_S5_PT0_S7_PKlllllliiiPKfSB_
                                        ; -- End function
	.set _ZN4vllm30reshape_and_cache_flash_kernelI14__hip_bfloat16S1_LNS_18Fp8KVCacheDataTypeE0EEEvPKT_S5_PT0_S7_PKlllllliiiPKfSB_.num_vgpr, 68
	.set _ZN4vllm30reshape_and_cache_flash_kernelI14__hip_bfloat16S1_LNS_18Fp8KVCacheDataTypeE0EEEvPKT_S5_PT0_S7_PKlllllliiiPKfSB_.num_agpr, 0
	.set _ZN4vllm30reshape_and_cache_flash_kernelI14__hip_bfloat16S1_LNS_18Fp8KVCacheDataTypeE0EEEvPKT_S5_PT0_S7_PKlllllliiiPKfSB_.numbered_sgpr, 60
	.set _ZN4vllm30reshape_and_cache_flash_kernelI14__hip_bfloat16S1_LNS_18Fp8KVCacheDataTypeE0EEEvPKT_S5_PT0_S7_PKlllllliiiPKfSB_.num_named_barrier, 0
	.set _ZN4vllm30reshape_and_cache_flash_kernelI14__hip_bfloat16S1_LNS_18Fp8KVCacheDataTypeE0EEEvPKT_S5_PT0_S7_PKlllllliiiPKfSB_.private_seg_size, 0
	.set _ZN4vllm30reshape_and_cache_flash_kernelI14__hip_bfloat16S1_LNS_18Fp8KVCacheDataTypeE0EEEvPKT_S5_PT0_S7_PKlllllliiiPKfSB_.uses_vcc, 1
	.set _ZN4vllm30reshape_and_cache_flash_kernelI14__hip_bfloat16S1_LNS_18Fp8KVCacheDataTypeE0EEEvPKT_S5_PT0_S7_PKlllllliiiPKfSB_.uses_flat_scratch, 0
	.set _ZN4vllm30reshape_and_cache_flash_kernelI14__hip_bfloat16S1_LNS_18Fp8KVCacheDataTypeE0EEEvPKT_S5_PT0_S7_PKlllllliiiPKfSB_.has_dyn_sized_stack, 0
	.set _ZN4vllm30reshape_and_cache_flash_kernelI14__hip_bfloat16S1_LNS_18Fp8KVCacheDataTypeE0EEEvPKT_S5_PT0_S7_PKlllllliiiPKfSB_.has_recursion, 0
	.set _ZN4vllm30reshape_and_cache_flash_kernelI14__hip_bfloat16S1_LNS_18Fp8KVCacheDataTypeE0EEEvPKT_S5_PT0_S7_PKlllllliiiPKfSB_.has_indirect_call, 0
	.section	.AMDGPU.csdata,"",@progbits
; Kernel info:
; codeLenInByte = 7540
; TotalNumSgprs: 66
; NumVgprs: 68
; NumAgprs: 0
; TotalNumVgprs: 68
; ScratchSize: 0
; MemoryBound: 0
; FloatMode: 240
; IeeeMode: 1
; LDSByteSize: 0 bytes/workgroup (compile time only)
; SGPRBlocks: 8
; VGPRBlocks: 8
; NumSGPRsForWavesPerEU: 66
; NumVGPRsForWavesPerEU: 68
; AccumOffset: 68
; Occupancy: 7
; WaveLimiterHint : 1
; COMPUTE_PGM_RSRC2:SCRATCH_EN: 0
; COMPUTE_PGM_RSRC2:USER_SGPR: 2
; COMPUTE_PGM_RSRC2:TRAP_HANDLER: 0
; COMPUTE_PGM_RSRC2:TGID_X_EN: 1
; COMPUTE_PGM_RSRC2:TGID_Y_EN: 0
; COMPUTE_PGM_RSRC2:TGID_Z_EN: 0
; COMPUTE_PGM_RSRC2:TIDIG_COMP_CNT: 0
; COMPUTE_PGM_RSRC3_GFX90A:ACCUM_OFFSET: 16
; COMPUTE_PGM_RSRC3_GFX90A:TG_SPLIT: 0
	.section	.text._ZN4vllm30reshape_and_cache_flash_kernelIfhLNS_18Fp8KVCacheDataTypeE1EEEvPKT_S4_PT0_S6_PKlllllliiiPKfSA_,"axG",@progbits,_ZN4vllm30reshape_and_cache_flash_kernelIfhLNS_18Fp8KVCacheDataTypeE1EEEvPKT_S4_PT0_S6_PKlllllliiiPKfSA_,comdat
	.protected	_ZN4vllm30reshape_and_cache_flash_kernelIfhLNS_18Fp8KVCacheDataTypeE1EEEvPKT_S4_PT0_S6_PKlllllliiiPKfSA_ ; -- Begin function _ZN4vllm30reshape_and_cache_flash_kernelIfhLNS_18Fp8KVCacheDataTypeE1EEEvPKT_S4_PT0_S6_PKlllllliiiPKfSA_
	.globl	_ZN4vllm30reshape_and_cache_flash_kernelIfhLNS_18Fp8KVCacheDataTypeE1EEEvPKT_S4_PT0_S6_PKlllllliiiPKfSA_
	.p2align	8
	.type	_ZN4vllm30reshape_and_cache_flash_kernelIfhLNS_18Fp8KVCacheDataTypeE1EEEvPKT_S4_PT0_S6_PKlllllliiiPKfSA_,@function
_ZN4vllm30reshape_and_cache_flash_kernelIfhLNS_18Fp8KVCacheDataTypeE1EEEvPKT_S4_PT0_S6_PKlllllliiiPKfSA_: ; @_ZN4vllm30reshape_and_cache_flash_kernelIfhLNS_18Fp8KVCacheDataTypeE1EEEvPKT_S4_PT0_S6_PKlllllliiiPKfSA_
; %bb.0:
	s_load_dwordx2 s[4:5], s[0:1], 0x20
	s_mov_b32 s3, 0
	s_lshl_b64 s[6:7], s[2:3], 3
	s_waitcnt lgkmcnt(0)
	s_add_u32 s4, s4, s6
	s_addc_u32 s5, s5, s7
	s_load_dwordx2 s[28:29], s[4:5], 0x0
	s_waitcnt lgkmcnt(0)
	v_cmp_lt_i64_e64 s[4:5], s[28:29], 0
	s_and_b64 vcc, exec, s[4:5]
	s_cbranch_vccnz .LBB17_71
; %bb.1:
	s_load_dwordx4 s[24:27], s[0:1], 0x50
	s_load_dwordx8 s[8:15], s[0:1], 0x0
	s_waitcnt lgkmcnt(0)
	s_ashr_i32 s27, s26, 31
	s_or_b64 s[4:5], s[28:29], s[26:27]
	s_mov_b32 s4, s3
	s_cmp_lg_u64 s[4:5], 0
	s_cbranch_scc0 .LBB17_72
; %bb.2:
	s_ashr_i32 s4, s27, 31
	s_add_u32 s6, s26, s4
	s_mov_b32 s5, s4
	s_addc_u32 s7, s27, s4
	s_xor_b64 s[16:17], s[6:7], s[4:5]
	v_cvt_f32_u32_e32 v1, s16
	v_cvt_f32_u32_e32 v2, s17
	s_sub_u32 s3, 0, s16
	s_subb_u32 s20, 0, s17
	v_fmamk_f32 v1, v2, 0x4f800000, v1
	v_rcp_f32_e32 v1, v1
	s_nop 0
	v_mul_f32_e32 v1, 0x5f7ffffc, v1
	v_mul_f32_e32 v2, 0x2f800000, v1
	v_trunc_f32_e32 v2, v2
	v_fmamk_f32 v1, v2, 0xcf800000, v1
	v_cvt_u32_f32_e32 v2, v2
	v_cvt_u32_f32_e32 v1, v1
	v_readfirstlane_b32 s21, v2
	v_readfirstlane_b32 s18, v1
	s_mul_i32 s19, s3, s21
	s_mul_hi_u32 s23, s3, s18
	s_mul_i32 s22, s20, s18
	s_add_i32 s19, s23, s19
	s_add_i32 s19, s19, s22
	s_mul_i32 s30, s3, s18
	s_mul_i32 s23, s18, s19
	s_mul_hi_u32 s31, s18, s30
	s_mul_hi_u32 s22, s18, s19
	s_add_u32 s23, s31, s23
	s_addc_u32 s22, 0, s22
	s_mul_hi_u32 s33, s21, s30
	s_mul_i32 s30, s21, s30
	s_add_u32 s23, s23, s30
	s_mul_hi_u32 s31, s21, s19
	s_addc_u32 s22, s22, s33
	s_addc_u32 s23, s31, 0
	s_mul_i32 s19, s21, s19
	s_add_u32 s19, s22, s19
	s_addc_u32 s22, 0, s23
	s_add_u32 s23, s18, s19
	s_cselect_b64 s[18:19], -1, 0
	s_cmp_lg_u64 s[18:19], 0
	s_addc_u32 s21, s21, s22
	s_mul_i32 s18, s3, s21
	s_mul_hi_u32 s19, s3, s23
	s_add_i32 s18, s19, s18
	s_mul_i32 s20, s20, s23
	s_add_i32 s18, s18, s20
	s_mul_i32 s3, s3, s23
	s_mul_hi_u32 s20, s21, s3
	s_mul_i32 s22, s21, s3
	s_mul_i32 s31, s23, s18
	s_mul_hi_u32 s3, s23, s3
	s_mul_hi_u32 s30, s23, s18
	s_add_u32 s3, s3, s31
	s_addc_u32 s30, 0, s30
	s_add_u32 s3, s3, s22
	s_mul_hi_u32 s19, s21, s18
	s_addc_u32 s3, s30, s20
	s_addc_u32 s19, s19, 0
	s_mul_i32 s18, s21, s18
	s_add_u32 s3, s3, s18
	s_addc_u32 s20, 0, s19
	s_add_u32 s3, s23, s3
	s_cselect_b64 s[18:19], -1, 0
	s_cmp_lg_u64 s[18:19], 0
	s_addc_u32 s22, s21, s20
	s_ashr_i32 s18, s29, 31
	s_add_u32 s20, s28, s18
	s_mov_b32 s19, s18
	s_addc_u32 s21, s29, s18
	s_xor_b64 s[20:21], s[20:21], s[18:19]
	s_mul_i32 s30, s20, s22
	s_mul_hi_u32 s31, s20, s3
	s_mul_hi_u32 s23, s20, s22
	s_add_u32 s30, s31, s30
	s_addc_u32 s23, 0, s23
	s_mul_hi_u32 s33, s21, s3
	s_mul_i32 s3, s21, s3
	s_add_u32 s3, s30, s3
	s_mul_hi_u32 s31, s21, s22
	s_addc_u32 s3, s23, s33
	s_addc_u32 s23, s31, 0
	s_mul_i32 s22, s21, s22
	s_add_u32 s3, s3, s22
	s_addc_u32 s33, 0, s23
	s_mul_i32 s22, s16, s33
	s_mul_hi_u32 s23, s16, s3
	s_add_i32 s22, s23, s22
	s_mul_i32 s23, s17, s3
	s_add_i32 s34, s22, s23
	s_sub_i32 s30, s21, s34
	s_mul_i32 s22, s16, s3
	s_sub_u32 s20, s20, s22
	s_cselect_b64 s[22:23], -1, 0
	s_cmp_lg_u64 s[22:23], 0
	s_subb_u32 s35, s30, s17
	s_sub_u32 s36, s20, s16
	s_cselect_b64 s[30:31], -1, 0
	s_cmp_lg_u64 s[30:31], 0
	s_subb_u32 s30, s35, 0
	s_cmp_ge_u32 s30, s17
	s_cselect_b32 s31, -1, 0
	s_cmp_ge_u32 s36, s16
	s_cselect_b32 s35, -1, 0
	s_cmp_eq_u32 s30, s17
	s_cselect_b32 s30, s35, s31
	s_add_u32 s31, s3, 1
	s_addc_u32 s35, s33, 0
	s_add_u32 s36, s3, 2
	s_addc_u32 s37, s33, 0
	s_cmp_lg_u32 s30, 0
	s_cselect_b32 s30, s36, s31
	s_cselect_b32 s31, s37, s35
	s_cmp_lg_u64 s[22:23], 0
	s_subb_u32 s21, s21, s34
	s_cmp_ge_u32 s21, s17
	s_cselect_b32 s22, -1, 0
	s_cmp_ge_u32 s20, s16
	s_cselect_b32 s16, -1, 0
	s_cmp_eq_u32 s21, s17
	s_cselect_b32 s16, s16, s22
	s_cmp_lg_u32 s16, 0
	s_cselect_b32 s17, s31, s33
	s_cselect_b32 s16, s30, s3
	s_xor_b64 s[4:5], s[18:19], s[4:5]
	s_xor_b64 s[16:17], s[16:17], s[4:5]
	s_sub_u32 s30, s16, s4
	s_subb_u32 s31, s17, s5
	s_cbranch_execnz .LBB17_4
.LBB17_3:
	v_cvt_f32_u32_e32 v1, s26
	s_sub_i32 s3, 0, s26
	s_mov_b32 s31, 0
	v_rcp_iflag_f32_e32 v1, v1
	s_nop 0
	v_mul_f32_e32 v1, 0x4f7ffffe, v1
	v_cvt_u32_f32_e32 v1, v1
	s_nop 0
	v_readfirstlane_b32 s4, v1
	s_mul_i32 s3, s3, s4
	s_mul_hi_u32 s3, s4, s3
	s_add_i32 s4, s4, s3
	s_mul_hi_u32 s3, s28, s4
	s_mul_i32 s5, s3, s26
	s_sub_i32 s5, s28, s5
	s_add_i32 s4, s3, 1
	s_sub_i32 s6, s5, s26
	s_cmp_ge_u32 s5, s26
	s_cselect_b32 s3, s4, s3
	s_cselect_b32 s5, s6, s5
	s_add_i32 s4, s3, 1
	s_cmp_ge_u32 s5, s26
	s_cselect_b32 s30, s4, s3
.LBB17_4:
	s_mul_i32 s3, s30, s27
	s_mul_hi_u32 s27, s30, s26
	s_load_dwordx8 s[16:23], s[0:1], 0x28
	s_load_dwordx2 s[36:37], s[0:1], 0x48
	s_load_dwordx4 s[4:7], s[0:1], 0x60
	s_add_i32 s3, s27, s3
	s_mul_i32 s27, s31, s26
	s_add_i32 s3, s3, s27
	s_mul_i32 s26, s30, s26
	s_sub_u32 s33, s28, s26
	s_subb_u32 s38, s29, s3
	s_waitcnt lgkmcnt(0)
	s_mul_i32 s3, s23, s2
	s_mul_hi_u32 s23, s22, s2
	s_add_i32 s23, s23, s3
	s_mul_i32 s22, s22, s2
	s_lshl_b64 s[28:29], s[22:23], 2
	s_add_u32 s34, s8, s28
	s_mul_i32 s3, s37, s2
	s_mul_hi_u32 s22, s36, s2
	s_addc_u32 s35, s9, s29
	s_add_i32 s3, s22, s3
	s_mul_i32 s2, s36, s2
	s_lshl_b64 s[22:23], s[2:3], 2
	s_add_u32 s26, s10, s22
	s_mul_i32 s2, s30, s17
	s_mul_hi_u32 s3, s30, s16
	s_addc_u32 s27, s11, s23
	s_add_i32 s2, s3, s2
	s_mul_i32 s3, s31, s16
	s_add_i32 s58, s2, s3
	s_mul_i32 s59, s30, s16
	s_add_u32 s2, s12, s59
	s_mul_i32 s16, s33, s19
	s_mul_hi_u32 s17, s33, s18
	s_addc_u32 s3, s13, s58
	s_add_i32 s16, s17, s16
	s_mul_i32 s38, s38, s18
	s_add_i32 s60, s16, s38
	s_mul_i32 s61, s33, s18
	s_add_u32 s30, s2, s61
	s_addc_u32 s31, s3, s60
	s_add_u32 s2, s14, s59
	s_addc_u32 s3, s15, s58
	s_add_u32 s18, s2, s61
	s_load_dword s2, s[0:1], 0x7c
	s_load_dword s62, s[4:5], 0x0
	;; [unrolled: 1-line block ×3, first 2 shown]
	s_addc_u32 s19, s3, s60
	s_ashr_i32 s1, s25, 31
	s_mov_b32 s0, s25
	s_waitcnt lgkmcnt(0)
	s_and_b32 s16, s2, 0xffff
	s_cmp_lg_u64 s[20:21], s[0:1]
	s_mov_b64 s[0:1], -1
	s_cbranch_scc0 .LBB17_39
; %bb.5:
	v_lshrrev_b32_e32 v1, 5, v0
	v_cmp_gt_i32_e32 vcc, s24, v1
	s_and_saveexec_b64 s[36:37], vcc
	s_cbranch_execz .LBB17_38
; %bb.6:
	s_lshr_b32 s17, s16, 5
	s_and_b32 s0, s25, 3
	s_cmp_eq_u32 s0, 0
	s_cselect_b64 s[2:3], -1, 0
	s_ashr_i32 s63, s25, 2
	s_add_u32 s4, s61, s59
	s_addc_u32 s5, s60, s58
	v_mov_b64_e32 v[2:3], s[4:5]
	v_mad_u64_u32 v[2:3], s[4:5], s20, v1, v[2:3]
	v_mov_b32_e32 v4, v3
	v_mad_u64_u32 v[4:5], s[4:5], s21, v1, v[4:5]
	s_mul_i32 s4, s21, s17
	s_mul_hi_u32 s5, s20, s17
	s_add_i32 s39, s5, s4
	s_add_u32 s40, s8, s28
	v_and_b32_e32 v6, 31, v0
	s_addc_u32 s41, s9, s29
	v_mov_b32_e32 v9, 0
	v_mov_b32_e32 v3, v4
	v_lshlrev_b32_e32 v8, 2, v6
	s_add_u32 s42, s10, s22
	v_lshl_add_u64 v[4:5], v[2:3], 0, v[8:9]
	v_lshlrev_b32_e32 v8, 4, v6
	s_addc_u32 s43, s11, s23
	v_lshl_add_u64 v[12:13], s[40:41], 0, v[8:9]
	v_lshl_add_u64 v[22:23], s[42:43], 0, v[8:9]
	v_cmp_gt_i32_e64 s[0:1], s63, v6
	v_mov_b32_e32 v7, v9
	v_lshl_add_u64 v[10:11], s[12:13], 0, v[4:5]
	s_mul_i32 s38, s20, s17
	v_mul_lo_u32 v14, s25, v1
	s_mul_i32 s64, s25, s17
	v_lshl_add_u64 v[16:17], s[12:13], 0, v[2:3]
	v_lshl_add_u64 v[18:19], v[12:13], 0, 8
	;; [unrolled: 1-line block ×5, first 2 shown]
	s_mov_b64 s[44:45], 0
	s_xor_b64 s[46:47], s[2:3], -1
	s_mov_b32 s65, 0x7f800000
	s_mov_b32 s66, 0x43e00000
	s_mov_b32 s67, 0x4020c0c
	s_mov_b64 s[48:49], 0x80
	s_mov_b64 s[50:51], 0x200
	v_lshlrev_b32_e32 v28, 2, v6
	v_mov_b32_e32 v44, 0xc3e00000
	s_branch .LBB17_9
.LBB17_7:                               ;   in Loop: Header=BB17_9 Depth=1
	s_or_b64 exec, exec, s[54:55]
.LBB17_8:                               ;   in Loop: Header=BB17_9 Depth=1
	s_or_b64 exec, exec, s[52:53]
	v_add_u32_e32 v1, s17, v1
	v_cmp_le_i32_e32 vcc, s24, v1
	v_lshl_add_u64 v[10:11], v[10:11], 0, s[38:39]
	v_add_u32_e32 v14, s64, v14
	v_lshl_add_u64 v[16:17], v[16:17], 0, s[38:39]
	v_lshl_add_u64 v[20:21], v[20:21], 0, s[38:39]
	s_or_b64 s[44:45], vcc, s[44:45]
	v_lshl_add_u64 v[24:25], v[24:25], 0, s[38:39]
	s_andn2_b64 exec, exec, s[44:45]
	s_cbranch_execz .LBB17_38
.LBB17_9:                               ; =>This Loop Header: Depth=1
                                        ;     Child Loop BB17_14 Depth 2
                                        ;     Child Loop BB17_17 Depth 2
	;; [unrolled: 1-line block ×6, first 2 shown]
	v_mul_lo_u32 v34, v1, s25
	v_ashrrev_i32_e32 v35, 31, v34
	v_lshl_add_u64 v[2:3], v[34:35], 2, s[34:35]
	v_mad_u64_u32 v[32:33], s[2:3], s20, v1, 0
	v_mov_b32_e32 v4, v33
	v_and_b32_e32 v8, 15, v2
	v_ashrrev_i32_e32 v15, 31, v14
	v_mad_u64_u32 v[4:5], s[2:3], s21, v1, v[4:5]
	v_cmp_ne_u64_e32 vcc, 0, v[8:9]
	v_lshlrev_b64 v[30:31], 2, v[14:15]
	v_mov_b32_e32 v33, v4
	s_or_b64 s[2:3], s[46:47], vcc
	s_and_saveexec_b64 s[4:5], s[2:3]
	s_xor_b64 s[52:53], exec, s[4:5]
	s_cbranch_execz .LBB17_19
; %bb.10:                               ;   in Loop: Header=BB17_9 Depth=1
	v_sub_u32_e32 v4, 0, v2
	v_bfe_u32 v4, v4, 2, 2
	v_min_i32_e32 v36, s25, v4
	v_cmp_lt_i32_e32 vcc, v6, v36
	s_and_saveexec_b64 s[2:3], vcc
	s_cbranch_execz .LBB17_12
; %bb.11:                               ;   in Loop: Header=BB17_9 Depth=1
	v_mov_b32_e32 v29, v9
	v_lshl_add_u64 v[2:3], v[2:3], 0, v[28:29]
	global_load_dword v2, v[2:3], off
	s_waitcnt vmcnt(0)
	v_div_scale_f32 v3, s[4:5], s62, s62, v2
	v_rcp_f32_e32 v4, v3
	v_div_scale_f32 v5, vcc, v2, s62, v2
	v_fma_f32 v8, -v3, v4, 1.0
	v_fmac_f32_e32 v4, v8, v4
	v_mul_f32_e32 v8, v5, v4
	v_fma_f32 v15, -v3, v8, v5
	v_fmac_f32_e32 v8, v15, v4
	v_fma_f32 v3, -v3, v8, v5
	v_div_fmas_f32 v3, v3, v4, v8
	v_div_fixup_f32 v2, v3, s62, v2
	v_med3_f32 v3, v2, s66, v44
	v_cmp_nlg_f32_e64 vcc, |v2|, s65
	v_mov_b32_e32 v4, v9
	s_nop 0
	v_cndmask_b32_e32 v2, v3, v2, vcc
	v_cvt_pk_fp8_f32 v4, v2, v2
	v_lshl_add_u64 v[2:3], s[30:31], 0, v[32:33]
	v_lshl_add_u64 v[2:3], v[2:3], 0, v[6:7]
	global_store_byte v[2:3], v4, off
.LBB17_12:                              ;   in Loop: Header=BB17_9 Depth=1
	s_or_b64 exec, exec, s[2:3]
	v_sub_u32_e32 v8, s25, v36
	v_ashrrev_i32_e32 v2, 31, v8
	v_lshrrev_b32_e32 v2, 30, v2
	v_add_u32_e32 v2, v8, v2
	v_ashrrev_i32_e32 v37, 31, v36
	v_ashrrev_i32_e32 v15, 2, v2
	v_cmp_lt_i32_e32 vcc, v6, v15
	v_lshl_add_u64 v[38:39], v[36:37], 2, v[30:31]
	s_and_saveexec_b64 s[54:55], vcc
	s_cbranch_execz .LBB17_15
; %bb.13:                               ;   in Loop: Header=BB17_9 Depth=1
	v_lshl_add_u64 v[40:41], v[10:11], 0, v[36:37]
	v_lshl_add_u64 v[42:43], v[12:13], 0, v[38:39]
	s_mov_b64 s[56:57], 0
	v_mov_b32_e32 v29, v6
.LBB17_14:                              ;   Parent Loop BB17_9 Depth=1
                                        ; =>  This Inner Loop Header: Depth=2
	global_load_dwordx4 v[2:5], v[42:43], off
	v_add_u32_e32 v29, 32, v29
	v_cmp_ge_i32_e32 vcc, v29, v15
	s_or_b64 s[56:57], vcc, s[56:57]
	v_mov_b32_e32 v45, 0
	v_mov_b32_e32 v46, 0
	;; [unrolled: 1-line block ×4, first 2 shown]
	v_lshl_add_u64 v[42:43], v[42:43], 0, s[50:51]
	s_waitcnt vmcnt(0)
	v_div_scale_f32 v49, s[2:3], s62, s62, v2
	v_div_scale_f32 v51, s[2:3], s62, s62, v3
	v_rcp_f32_e32 v57, v49
	v_div_scale_f32 v53, s[4:5], s62, s62, v4
	v_rcp_f32_e32 v58, v51
	v_rcp_f32_e32 v59, v53
	v_div_scale_f32 v55, s[6:7], s62, s62, v5
	v_rcp_f32_e32 v60, v55
	v_fma_f32 v61, -v49, v57, 1.0
	v_div_scale_f32 v50, vcc, v2, s62, v2
	v_fma_f32 v62, -v51, v58, 1.0
	v_fmac_f32_e32 v57, v61, v57
	v_div_scale_f32 v52, s[2:3], v3, s62, v3
	v_fma_f32 v63, -v53, v59, 1.0
	v_fmac_f32_e32 v58, v62, v58
	v_mul_f32_e32 v61, v50, v57
	v_div_scale_f32 v54, s[4:5], v4, s62, v4
	v_fmac_f32_e32 v59, v63, v59
	v_mul_f32_e32 v62, v52, v58
	v_fma_f32 v65, -v49, v61, v50
	v_fma_f32 v64, -v55, v60, 1.0
	v_mul_f32_e32 v63, v54, v59
	v_fma_f32 v66, -v51, v62, v52
	v_fmac_f32_e32 v61, v65, v57
	v_div_scale_f32 v56, s[6:7], v5, s62, v5
	v_fmac_f32_e32 v60, v64, v60
	v_fma_f32 v67, -v53, v63, v54
	v_fmac_f32_e32 v62, v66, v58
	v_fma_f32 v49, -v49, v61, v50
	v_mul_f32_e32 v64, v56, v60
	v_fmac_f32_e32 v63, v67, v59
	v_fma_f32 v50, -v51, v62, v52
	v_div_fmas_f32 v49, v49, v57, v61
	s_mov_b64 vcc, s[2:3]
	v_fma_f32 v68, -v55, v64, v56
	v_fma_f32 v51, -v53, v63, v54
	v_div_fixup_f32 v2, v49, s62, v2
	v_div_fmas_f32 v49, v50, v58, v62
	s_mov_b64 vcc, s[4:5]
	v_fmac_f32_e32 v64, v68, v60
	v_med3_f32 v50, v2, s66, v44
	v_div_fixup_f32 v3, v49, s62, v3
	v_div_fmas_f32 v49, v51, v59, v63
	v_cmp_nlg_f32_e64 vcc, |v2|, s65
	v_fma_f32 v52, -v55, v64, v56
	v_cmp_nlg_f32_e64 s[2:3], |v3|, s65
	v_cndmask_b32_e32 v2, v50, v2, vcc
	s_mov_b64 vcc, s[6:7]
	v_med3_f32 v50, v3, s66, v44
	v_div_fixup_f32 v4, v49, s62, v4
	v_div_fmas_f32 v49, v52, v60, v64
	v_cvt_pk_fp8_f32 v45, v2, v2
	v_cndmask_b32_e64 v2, v50, v3, s[2:3]
	v_med3_f32 v3, v4, s66, v44
	v_cmp_nlg_f32_e64 vcc, |v4|, s65
	v_div_fixup_f32 v5, v49, s62, v5
	v_cvt_pk_fp8_f32 v46, v2, v2
	v_cndmask_b32_e32 v2, v3, v4, vcc
	v_med3_f32 v3, v5, s66, v44
	v_cmp_nlg_f32_e64 vcc, |v5|, s65
	v_cvt_pk_fp8_f32 v47, v2, v2
	v_lshlrev_b32_e32 v4, 16, v47
	v_cndmask_b32_e32 v2, v3, v5, vcc
	v_cvt_pk_fp8_f32 v48, v2, v2
	v_lshlrev_b32_e32 v3, 8, v46
	v_and_b32_e32 v2, 0xff, v45
	v_and_b32_e32 v3, 0xff00, v3
	v_perm_b32 v4, v48, v4, s67
	v_or3_b32 v2, v4, v3, v2
	global_store_dword v[40:41], v2, off
	v_lshl_add_u64 v[40:41], v[40:41], 0, s[48:49]
	s_andn2_b64 exec, exec, s[56:57]
	s_cbranch_execnz .LBB17_14
.LBB17_15:                              ;   in Loop: Header=BB17_9 Depth=1
	s_or_b64 exec, exec, s[54:55]
	v_lshl_add_u32 v2, v15, 2, v6
	v_cmp_lt_i32_e32 vcc, v2, v8
	s_and_saveexec_b64 s[2:3], vcc
	s_cbranch_execz .LBB17_18
; %bb.16:                               ;   in Loop: Header=BB17_9 Depth=1
	v_ashrrev_i32_e32 v3, 31, v2
	v_lshl_add_u64 v[4:5], v[2:3], 2, v[38:39]
	v_lshl_add_u64 v[36:37], v[36:37], 0, v[2:3]
	;; [unrolled: 1-line block ×4, first 2 shown]
	s_mov_b64 s[4:5], 0
.LBB17_17:                              ;   Parent Loop BB17_9 Depth=1
                                        ; =>  This Inner Loop Header: Depth=2
	global_load_dword v3, v[4:5], off
	v_mov_b32_e32 v15, 0
	v_add_u32_e32 v2, 32, v2
	v_lshl_add_u64 v[4:5], v[4:5], 0, s[48:49]
	s_waitcnt vmcnt(0)
	v_div_scale_f32 v29, s[6:7], s62, s62, v3
	v_rcp_f32_e32 v39, v29
	v_div_scale_f32 v38, vcc, v3, s62, v3
	v_fma_f32 v40, -v29, v39, 1.0
	v_fmac_f32_e32 v39, v40, v39
	v_mul_f32_e32 v40, v38, v39
	v_fma_f32 v41, -v29, v40, v38
	v_fmac_f32_e32 v40, v41, v39
	v_fma_f32 v29, -v29, v40, v38
	v_div_fmas_f32 v29, v29, v39, v40
	v_div_fixup_f32 v3, v29, s62, v3
	v_med3_f32 v29, v3, s66, v44
	v_cmp_nlg_f32_e64 vcc, |v3|, s65
	s_nop 1
	v_cndmask_b32_e32 v3, v29, v3, vcc
	v_cvt_pk_fp8_f32 v15, v3, v3
	v_cmp_ge_i32_e32 vcc, v2, v8
	s_or_b64 s[4:5], vcc, s[4:5]
	global_store_byte v[36:37], v15, off
	v_lshl_add_u64 v[36:37], v[36:37], 0, 32
	s_andn2_b64 exec, exec, s[4:5]
	s_cbranch_execnz .LBB17_17
.LBB17_18:                              ;   in Loop: Header=BB17_9 Depth=1
	s_or_b64 exec, exec, s[2:3]
.LBB17_19:                              ;   in Loop: Header=BB17_9 Depth=1
	s_andn2_saveexec_b64 s[52:53], s[52:53]
	s_cbranch_execz .LBB17_24
; %bb.20:                               ;   in Loop: Header=BB17_9 Depth=1
	s_and_saveexec_b64 s[54:55], s[0:1]
	s_cbranch_execz .LBB17_23
; %bb.21:                               ;   in Loop: Header=BB17_9 Depth=1
	v_lshl_add_u64 v[36:37], v[18:19], 0, v[30:31]
	s_mov_b64 s[56:57], 0
	v_mov_b64_e32 v[38:39], v[10:11]
	v_mov_b32_e32 v8, v6
.LBB17_22:                              ;   Parent Loop BB17_9 Depth=1
                                        ; =>  This Inner Loop Header: Depth=2
	global_load_dwordx4 v[2:5], v[36:37], off offset:-8
	v_add_u32_e32 v8, 32, v8
	v_cmp_le_i32_e32 vcc, s63, v8
	s_or_b64 s[56:57], vcc, s[56:57]
	v_mov_b32_e32 v15, 0
	v_mov_b32_e32 v29, 0
	;; [unrolled: 1-line block ×4, first 2 shown]
	v_lshl_add_u64 v[36:37], v[36:37], 0, s[50:51]
	s_waitcnt vmcnt(0)
	v_div_scale_f32 v42, s[2:3], s62, s62, v2
	v_div_scale_f32 v45, s[2:3], s62, s62, v3
	v_rcp_f32_e32 v51, v42
	v_div_scale_f32 v47, s[4:5], s62, s62, v4
	v_rcp_f32_e32 v52, v45
	v_rcp_f32_e32 v53, v47
	v_div_scale_f32 v49, s[6:7], s62, s62, v5
	v_rcp_f32_e32 v54, v49
	v_fma_f32 v55, -v42, v51, 1.0
	v_div_scale_f32 v43, vcc, v2, s62, v2
	v_fma_f32 v56, -v45, v52, 1.0
	v_fmac_f32_e32 v51, v55, v51
	v_div_scale_f32 v46, s[2:3], v3, s62, v3
	v_fma_f32 v57, -v47, v53, 1.0
	v_fmac_f32_e32 v52, v56, v52
	v_mul_f32_e32 v55, v43, v51
	v_div_scale_f32 v48, s[4:5], v4, s62, v4
	v_fmac_f32_e32 v53, v57, v53
	v_mul_f32_e32 v56, v46, v52
	v_fma_f32 v59, -v42, v55, v43
	v_fma_f32 v58, -v49, v54, 1.0
	v_mul_f32_e32 v57, v48, v53
	v_fma_f32 v60, -v45, v56, v46
	v_fmac_f32_e32 v55, v59, v51
	v_div_scale_f32 v50, s[6:7], v5, s62, v5
	v_fmac_f32_e32 v54, v58, v54
	v_fma_f32 v61, -v47, v57, v48
	v_fmac_f32_e32 v56, v60, v52
	v_fma_f32 v42, -v42, v55, v43
	v_mul_f32_e32 v58, v50, v54
	v_fmac_f32_e32 v57, v61, v53
	v_fma_f32 v43, -v45, v56, v46
	v_div_fmas_f32 v42, v42, v51, v55
	s_mov_b64 vcc, s[2:3]
	v_fma_f32 v62, -v49, v58, v50
	v_fma_f32 v45, -v47, v57, v48
	v_div_fixup_f32 v2, v42, s62, v2
	v_div_fmas_f32 v42, v43, v52, v56
	s_mov_b64 vcc, s[4:5]
	v_fmac_f32_e32 v58, v62, v54
	v_med3_f32 v43, v2, s66, v44
	v_div_fixup_f32 v3, v42, s62, v3
	v_div_fmas_f32 v42, v45, v53, v57
	v_cmp_nlg_f32_e64 vcc, |v2|, s65
	v_fma_f32 v46, -v49, v58, v50
	v_cmp_nlg_f32_e64 s[2:3], |v3|, s65
	v_cndmask_b32_e32 v2, v43, v2, vcc
	s_mov_b64 vcc, s[6:7]
	v_med3_f32 v43, v3, s66, v44
	v_div_fixup_f32 v4, v42, s62, v4
	v_div_fmas_f32 v42, v46, v54, v58
	v_cvt_pk_fp8_f32 v15, v2, v2
	v_cndmask_b32_e64 v2, v43, v3, s[2:3]
	v_med3_f32 v3, v4, s66, v44
	v_cmp_nlg_f32_e64 vcc, |v4|, s65
	v_div_fixup_f32 v5, v42, s62, v5
	v_cvt_pk_fp8_f32 v29, v2, v2
	v_cndmask_b32_e32 v2, v3, v4, vcc
	v_med3_f32 v3, v5, s66, v44
	v_cmp_nlg_f32_e64 vcc, |v5|, s65
	v_cvt_pk_fp8_f32 v40, v2, v2
	v_lshlrev_b32_e32 v4, 16, v40
	v_cndmask_b32_e32 v2, v3, v5, vcc
	v_cvt_pk_fp8_f32 v41, v2, v2
	v_lshlrev_b32_e32 v3, 8, v29
	v_and_b32_e32 v2, 0xff, v15
	v_and_b32_e32 v3, 0xff00, v3
	v_perm_b32 v4, v41, v4, s67
	v_or3_b32 v2, v4, v3, v2
	global_store_dword v[38:39], v2, off
	v_lshl_add_u64 v[38:39], v[38:39], 0, s[48:49]
	s_andn2_b64 exec, exec, s[56:57]
	s_cbranch_execnz .LBB17_22
.LBB17_23:                              ;   in Loop: Header=BB17_9 Depth=1
	s_or_b64 exec, exec, s[54:55]
.LBB17_24:                              ;   in Loop: Header=BB17_9 Depth=1
	s_or_b64 exec, exec, s[52:53]
	v_lshl_add_u64 v[2:3], v[34:35], 2, s[26:27]
	v_and_b32_e32 v8, 15, v2
	v_cmp_ne_u64_e32 vcc, 0, v[8:9]
	s_or_b64 s[2:3], s[46:47], vcc
	s_and_saveexec_b64 s[4:5], s[2:3]
	s_xor_b64 s[52:53], exec, s[4:5]
	s_cbranch_execz .LBB17_34
; %bb.25:                               ;   in Loop: Header=BB17_9 Depth=1
	v_sub_u32_e32 v4, 0, v2
	v_bfe_u32 v4, v4, 2, 2
	v_min_i32_e32 v34, s25, v4
	v_cmp_lt_i32_e32 vcc, v6, v34
	s_and_saveexec_b64 s[2:3], vcc
	s_cbranch_execz .LBB17_27
; %bb.26:                               ;   in Loop: Header=BB17_9 Depth=1
	v_mov_b32_e32 v29, v9
	v_lshl_add_u64 v[2:3], v[2:3], 0, v[28:29]
	global_load_dword v2, v[2:3], off
	s_waitcnt vmcnt(0)
	v_div_scale_f32 v3, s[4:5], s33, s33, v2
	v_rcp_f32_e32 v4, v3
	v_div_scale_f32 v5, vcc, v2, s33, v2
	v_fma_f32 v8, -v3, v4, 1.0
	v_fmac_f32_e32 v4, v8, v4
	v_mul_f32_e32 v8, v5, v4
	v_fma_f32 v15, -v3, v8, v5
	v_fmac_f32_e32 v8, v15, v4
	v_fma_f32 v3, -v3, v8, v5
	v_div_fmas_f32 v3, v3, v4, v8
	v_div_fixup_f32 v2, v3, s33, v2
	v_med3_f32 v3, v2, s66, v44
	v_cmp_nlg_f32_e64 vcc, |v2|, s65
	v_mov_b32_e32 v4, v9
	s_nop 0
	v_cndmask_b32_e32 v2, v3, v2, vcc
	v_cvt_pk_fp8_f32 v4, v2, v2
	v_lshl_add_u64 v[2:3], s[18:19], 0, v[32:33]
	v_lshl_add_u64 v[2:3], v[2:3], 0, v[6:7]
	global_store_byte v[2:3], v4, off
.LBB17_27:                              ;   in Loop: Header=BB17_9 Depth=1
	s_or_b64 exec, exec, s[2:3]
	v_sub_u32_e32 v8, s25, v34
	v_ashrrev_i32_e32 v2, 31, v8
	v_lshrrev_b32_e32 v2, 30, v2
	v_add_u32_e32 v2, v8, v2
	v_ashrrev_i32_e32 v35, 31, v34
	v_ashrrev_i32_e32 v15, 2, v2
	v_cmp_lt_i32_e32 vcc, v6, v15
	v_lshl_add_u64 v[30:31], v[34:35], 2, v[30:31]
	s_and_saveexec_b64 s[54:55], vcc
	s_cbranch_execz .LBB17_30
; %bb.28:                               ;   in Loop: Header=BB17_9 Depth=1
	v_lshl_add_u64 v[32:33], v[20:21], 0, v[34:35]
	v_lshl_add_u64 v[36:37], v[22:23], 0, v[30:31]
	s_mov_b64 s[56:57], 0
	v_mov_b32_e32 v29, v6
.LBB17_29:                              ;   Parent Loop BB17_9 Depth=1
                                        ; =>  This Inner Loop Header: Depth=2
	global_load_dwordx4 v[2:5], v[36:37], off
	v_add_u32_e32 v29, 32, v29
	v_cmp_ge_i32_e32 vcc, v29, v15
	s_or_b64 s[56:57], vcc, s[56:57]
	v_mov_b32_e32 v38, 0
	v_mov_b32_e32 v39, 0
	;; [unrolled: 1-line block ×4, first 2 shown]
	v_lshl_add_u64 v[36:37], v[36:37], 0, s[50:51]
	s_waitcnt vmcnt(0)
	v_div_scale_f32 v42, s[2:3], s33, s33, v2
	v_div_scale_f32 v45, s[2:3], s33, s33, v3
	v_rcp_f32_e32 v51, v42
	v_div_scale_f32 v47, s[4:5], s33, s33, v4
	v_rcp_f32_e32 v52, v45
	v_rcp_f32_e32 v53, v47
	v_div_scale_f32 v49, s[6:7], s33, s33, v5
	v_rcp_f32_e32 v54, v49
	v_fma_f32 v55, -v42, v51, 1.0
	v_div_scale_f32 v43, vcc, v2, s33, v2
	v_fma_f32 v56, -v45, v52, 1.0
	v_fmac_f32_e32 v51, v55, v51
	v_div_scale_f32 v46, s[2:3], v3, s33, v3
	v_fma_f32 v57, -v47, v53, 1.0
	v_fmac_f32_e32 v52, v56, v52
	v_mul_f32_e32 v55, v43, v51
	v_div_scale_f32 v48, s[4:5], v4, s33, v4
	v_fmac_f32_e32 v53, v57, v53
	v_mul_f32_e32 v56, v46, v52
	v_fma_f32 v59, -v42, v55, v43
	v_fma_f32 v58, -v49, v54, 1.0
	v_mul_f32_e32 v57, v48, v53
	v_fma_f32 v60, -v45, v56, v46
	v_fmac_f32_e32 v55, v59, v51
	v_div_scale_f32 v50, s[6:7], v5, s33, v5
	v_fmac_f32_e32 v54, v58, v54
	v_fma_f32 v61, -v47, v57, v48
	v_fmac_f32_e32 v56, v60, v52
	v_fma_f32 v42, -v42, v55, v43
	v_mul_f32_e32 v58, v50, v54
	v_fmac_f32_e32 v57, v61, v53
	v_fma_f32 v43, -v45, v56, v46
	v_div_fmas_f32 v42, v42, v51, v55
	s_mov_b64 vcc, s[2:3]
	v_fma_f32 v62, -v49, v58, v50
	v_fma_f32 v45, -v47, v57, v48
	v_div_fixup_f32 v2, v42, s33, v2
	v_div_fmas_f32 v42, v43, v52, v56
	s_mov_b64 vcc, s[4:5]
	v_fmac_f32_e32 v58, v62, v54
	v_med3_f32 v43, v2, s66, v44
	v_div_fixup_f32 v3, v42, s33, v3
	v_div_fmas_f32 v42, v45, v53, v57
	v_cmp_nlg_f32_e64 vcc, |v2|, s65
	v_fma_f32 v46, -v49, v58, v50
	v_cmp_nlg_f32_e64 s[2:3], |v3|, s65
	v_cndmask_b32_e32 v2, v43, v2, vcc
	s_mov_b64 vcc, s[6:7]
	v_med3_f32 v43, v3, s66, v44
	v_div_fixup_f32 v4, v42, s33, v4
	v_div_fmas_f32 v42, v46, v54, v58
	v_cvt_pk_fp8_f32 v38, v2, v2
	v_cndmask_b32_e64 v2, v43, v3, s[2:3]
	v_med3_f32 v3, v4, s66, v44
	v_cmp_nlg_f32_e64 vcc, |v4|, s65
	v_div_fixup_f32 v5, v42, s33, v5
	v_cvt_pk_fp8_f32 v39, v2, v2
	v_cndmask_b32_e32 v2, v3, v4, vcc
	v_med3_f32 v3, v5, s66, v44
	v_cmp_nlg_f32_e64 vcc, |v5|, s65
	v_cvt_pk_fp8_f32 v40, v2, v2
	v_lshlrev_b32_e32 v4, 16, v40
	v_cndmask_b32_e32 v2, v3, v5, vcc
	v_cvt_pk_fp8_f32 v41, v2, v2
	v_lshlrev_b32_e32 v3, 8, v39
	v_and_b32_e32 v2, 0xff, v38
	v_and_b32_e32 v3, 0xff00, v3
	v_perm_b32 v4, v41, v4, s67
	v_or3_b32 v2, v4, v3, v2
	global_store_dword v[32:33], v2, off
	v_lshl_add_u64 v[32:33], v[32:33], 0, s[48:49]
	s_andn2_b64 exec, exec, s[56:57]
	s_cbranch_execnz .LBB17_29
.LBB17_30:                              ;   in Loop: Header=BB17_9 Depth=1
	s_or_b64 exec, exec, s[54:55]
	v_lshl_add_u32 v2, v15, 2, v6
	v_cmp_lt_i32_e32 vcc, v2, v8
	s_and_saveexec_b64 s[2:3], vcc
	s_cbranch_execz .LBB17_33
; %bb.31:                               ;   in Loop: Header=BB17_9 Depth=1
	v_ashrrev_i32_e32 v3, 31, v2
	v_lshl_add_u64 v[4:5], v[2:3], 2, v[30:31]
	v_lshl_add_u64 v[30:31], v[34:35], 0, v[2:3]
	;; [unrolled: 1-line block ×4, first 2 shown]
	s_mov_b64 s[4:5], 0
.LBB17_32:                              ;   Parent Loop BB17_9 Depth=1
                                        ; =>  This Inner Loop Header: Depth=2
	global_load_dword v3, v[4:5], off
	v_mov_b32_e32 v15, 0
	v_add_u32_e32 v2, 32, v2
	v_lshl_add_u64 v[4:5], v[4:5], 0, s[48:49]
	s_waitcnt vmcnt(0)
	v_div_scale_f32 v29, s[6:7], s33, s33, v3
	v_rcp_f32_e32 v33, v29
	v_div_scale_f32 v32, vcc, v3, s33, v3
	v_fma_f32 v34, -v29, v33, 1.0
	v_fmac_f32_e32 v33, v34, v33
	v_mul_f32_e32 v34, v32, v33
	v_fma_f32 v35, -v29, v34, v32
	v_fmac_f32_e32 v34, v35, v33
	v_fma_f32 v29, -v29, v34, v32
	v_div_fmas_f32 v29, v29, v33, v34
	v_div_fixup_f32 v3, v29, s33, v3
	v_med3_f32 v29, v3, s66, v44
	v_cmp_nlg_f32_e64 vcc, |v3|, s65
	s_nop 1
	v_cndmask_b32_e32 v3, v29, v3, vcc
	v_cvt_pk_fp8_f32 v15, v3, v3
	v_cmp_ge_i32_e32 vcc, v2, v8
	s_or_b64 s[4:5], vcc, s[4:5]
	global_store_byte v[30:31], v15, off
	v_lshl_add_u64 v[30:31], v[30:31], 0, 32
	s_andn2_b64 exec, exec, s[4:5]
	s_cbranch_execnz .LBB17_32
.LBB17_33:                              ;   in Loop: Header=BB17_9 Depth=1
	s_or_b64 exec, exec, s[2:3]
                                        ; implicit-def: $vgpr30_vgpr31
.LBB17_34:                              ;   in Loop: Header=BB17_9 Depth=1
	s_andn2_saveexec_b64 s[52:53], s[52:53]
	s_cbranch_execz .LBB17_8
; %bb.35:                               ;   in Loop: Header=BB17_9 Depth=1
	s_and_saveexec_b64 s[54:55], s[0:1]
	s_cbranch_execz .LBB17_7
; %bb.36:                               ;   in Loop: Header=BB17_9 Depth=1
	v_lshl_add_u64 v[30:31], v[26:27], 0, v[30:31]
	s_mov_b64 s[56:57], 0
	v_mov_b64_e32 v[32:33], v[20:21]
	v_mov_b32_e32 v8, v6
.LBB17_37:                              ;   Parent Loop BB17_9 Depth=1
                                        ; =>  This Inner Loop Header: Depth=2
	global_load_dwordx4 v[2:5], v[30:31], off offset:-8
	v_add_u32_e32 v8, 32, v8
	v_cmp_le_i32_e32 vcc, s63, v8
	s_or_b64 s[56:57], vcc, s[56:57]
	v_mov_b32_e32 v15, 0
	v_mov_b32_e32 v29, 0
	v_mov_b32_e32 v34, 0
	v_mov_b32_e32 v35, 0
	v_lshl_add_u64 v[30:31], v[30:31], 0, s[50:51]
	s_waitcnt vmcnt(0)
	v_div_scale_f32 v36, s[2:3], s33, s33, v2
	v_div_scale_f32 v38, s[2:3], s33, s33, v3
	v_rcp_f32_e32 v45, v36
	v_div_scale_f32 v40, s[4:5], s33, s33, v4
	v_rcp_f32_e32 v46, v38
	v_rcp_f32_e32 v47, v40
	v_div_scale_f32 v42, s[6:7], s33, s33, v5
	v_rcp_f32_e32 v48, v42
	v_fma_f32 v49, -v36, v45, 1.0
	v_div_scale_f32 v37, vcc, v2, s33, v2
	v_fma_f32 v50, -v38, v46, 1.0
	v_fmac_f32_e32 v45, v49, v45
	v_div_scale_f32 v39, s[2:3], v3, s33, v3
	v_fma_f32 v51, -v40, v47, 1.0
	v_fmac_f32_e32 v46, v50, v46
	v_mul_f32_e32 v49, v37, v45
	v_div_scale_f32 v41, s[4:5], v4, s33, v4
	v_fmac_f32_e32 v47, v51, v47
	v_mul_f32_e32 v50, v39, v46
	v_fma_f32 v53, -v36, v49, v37
	v_fma_f32 v52, -v42, v48, 1.0
	v_mul_f32_e32 v51, v41, v47
	v_fma_f32 v54, -v38, v50, v39
	v_fmac_f32_e32 v49, v53, v45
	v_div_scale_f32 v43, s[6:7], v5, s33, v5
	v_fmac_f32_e32 v48, v52, v48
	v_fma_f32 v55, -v40, v51, v41
	v_fmac_f32_e32 v50, v54, v46
	v_fma_f32 v36, -v36, v49, v37
	v_mul_f32_e32 v52, v43, v48
	v_fmac_f32_e32 v51, v55, v47
	v_fma_f32 v37, -v38, v50, v39
	v_div_fmas_f32 v36, v36, v45, v49
	s_mov_b64 vcc, s[2:3]
	v_fma_f32 v56, -v42, v52, v43
	v_fma_f32 v38, -v40, v51, v41
	v_div_fixup_f32 v2, v36, s33, v2
	v_div_fmas_f32 v36, v37, v46, v50
	s_mov_b64 vcc, s[4:5]
	v_fmac_f32_e32 v52, v56, v48
	v_med3_f32 v37, v2, s66, v44
	v_div_fixup_f32 v3, v36, s33, v3
	v_div_fmas_f32 v36, v38, v47, v51
	v_cmp_nlg_f32_e64 vcc, |v2|, s65
	v_fma_f32 v39, -v42, v52, v43
	v_cmp_nlg_f32_e64 s[2:3], |v3|, s65
	v_cndmask_b32_e32 v2, v37, v2, vcc
	s_mov_b64 vcc, s[6:7]
	v_med3_f32 v37, v3, s66, v44
	v_div_fixup_f32 v4, v36, s33, v4
	v_div_fmas_f32 v36, v39, v48, v52
	v_cvt_pk_fp8_f32 v15, v2, v2
	v_cndmask_b32_e64 v2, v37, v3, s[2:3]
	v_med3_f32 v3, v4, s66, v44
	v_cmp_nlg_f32_e64 vcc, |v4|, s65
	v_div_fixup_f32 v5, v36, s33, v5
	v_cvt_pk_fp8_f32 v29, v2, v2
	v_cndmask_b32_e32 v2, v3, v4, vcc
	v_med3_f32 v3, v5, s66, v44
	v_cmp_nlg_f32_e64 vcc, |v5|, s65
	v_cvt_pk_fp8_f32 v34, v2, v2
	v_lshlrev_b32_e32 v4, 16, v34
	v_cndmask_b32_e32 v2, v3, v5, vcc
	v_cvt_pk_fp8_f32 v35, v2, v2
	v_lshlrev_b32_e32 v3, 8, v29
	v_and_b32_e32 v2, 0xff, v15
	v_and_b32_e32 v3, 0xff00, v3
	v_perm_b32 v4, v35, v4, s67
	v_or3_b32 v2, v4, v3, v2
	global_store_dword v[32:33], v2, off
	v_lshl_add_u64 v[32:33], v[32:33], 0, s[48:49]
	s_andn2_b64 exec, exec, s[56:57]
	s_cbranch_execnz .LBB17_37
	s_branch .LBB17_7
.LBB17_38:
	s_or_b64 exec, exec, s[36:37]
	s_mov_b64 s[0:1], 0
.LBB17_39:
	s_andn2_b64 vcc, exec, s[0:1]
	s_cbranch_vccnz .LBB17_71
; %bb.40:
	s_and_b32 s0, s34, 15
	s_mov_b32 s1, 0
	s_mul_i32 s27, s25, s24
	s_cmp_lg_u64 s[0:1], 0
	s_cselect_b64 s[0:1], -1, 0
	s_and_b32 s2, s27, 3
	s_cmp_eq_u32 s2, 0
	s_cselect_b64 s[6:7], -1, 0
	s_cmp_lg_u32 s2, 0
	s_cselect_b64 s[2:3], -1, 0
	s_or_b64 s[2:3], s[0:1], s[2:3]
	s_mov_b64 s[0:1], -1
	s_and_b64 vcc, exec, s[2:3]
	s_cbranch_vccz .LBB17_51
; %bb.41:
	s_sub_i32 s0, 0, s34
	s_bfe_u32 s0, s0, 0x20002
	s_min_i32 s20, s0, s27
	v_cmp_gt_i32_e32 vcc, s20, v0
	s_and_saveexec_b64 s[0:1], vcc
	s_cbranch_execz .LBB17_44
; %bb.42:
	v_mov_b32_e32 v1, 0
	s_add_u32 s2, s8, s28
	s_mov_b32 s17, 0
	v_lshlrev_b32_e32 v2, 2, v0
	v_mov_b32_e32 v3, v1
	s_addc_u32 s3, s9, s29
	v_lshl_add_u64 v[2:3], s[2:3], 0, v[2:3]
	s_lshl_b32 s2, s16, 2
	s_mov_b32 s3, s17
	s_mov_b64 s[4:5], 0
	s_mov_b32 s21, 0x7f800000
	s_mov_b32 s24, 0x43e00000
	v_mov_b32_e32 v6, 0xc3e00000
	v_mov_b64_e32 v[4:5], v[0:1]
.LBB17_43:                              ; =>This Inner Loop Header: Depth=1
	global_load_dword v1, v[2:3], off
	v_mov_b32_e32 v7, 0
	v_lshl_add_u64 v[8:9], s[30:31], 0, v[4:5]
	v_lshl_add_u64 v[4:5], v[4:5], 0, s[16:17]
	;; [unrolled: 1-line block ×3, first 2 shown]
	s_waitcnt vmcnt(0)
	v_div_scale_f32 v10, s[34:35], s62, s62, v1
	v_rcp_f32_e32 v11, v10
	v_div_scale_f32 v12, vcc, v1, s62, v1
	v_fma_f32 v13, -v10, v11, 1.0
	v_fmac_f32_e32 v11, v13, v11
	v_mul_f32_e32 v13, v12, v11
	v_fma_f32 v14, -v10, v13, v12
	v_fmac_f32_e32 v13, v14, v11
	v_fma_f32 v10, -v10, v13, v12
	v_div_fmas_f32 v10, v10, v11, v13
	v_div_fixup_f32 v1, v10, s62, v1
	v_med3_f32 v10, v1, s24, v6
	v_cmp_nlg_f32_e64 vcc, |v1|, s21
	s_nop 1
	v_cndmask_b32_e32 v1, v10, v1, vcc
	v_cvt_pk_fp8_f32 v7, v1, v1
	v_cmp_le_i32_e32 vcc, s20, v4
	s_or_b64 s[4:5], vcc, s[4:5]
	global_store_byte v[8:9], v7, off
	s_andn2_b64 exec, exec, s[4:5]
	s_cbranch_execnz .LBB17_43
.LBB17_44:
	s_or_b64 exec, exec, s[0:1]
	s_sub_i32 s17, s27, s20
	s_ashr_i32 s0, s17, 31
	s_lshr_b32 s0, s0, 30
	s_add_i32 s0, s17, s0
	s_ashr_i32 s38, s0, 2
	s_ashr_i32 s21, s20, 31
	v_cmp_gt_i32_e32 vcc, s38, v0
	s_and_saveexec_b64 s[24:25], vcc
	s_cbranch_execz .LBB17_47
; %bb.45:
	s_add_u32 s0, s20, s59
	s_addc_u32 s1, s21, s58
	s_add_u32 s0, s0, s61
	s_addc_u32 s1, s1, s60
	s_add_u32 s0, s12, s0
	v_lshlrev_b32_e32 v2, 2, v0
	v_mov_b32_e32 v3, 0
	s_addc_u32 s1, s13, s1
	v_lshl_add_u64 v[6:7], s[0:1], 0, v[2:3]
	s_lshl_b32 s30, s16, 2
	s_lshl_b64 s[0:1], s[20:21], 2
	s_add_u32 s0, s8, s0
	s_addc_u32 s1, s9, s1
	s_add_u32 s0, s0, s28
	v_lshlrev_b32_e32 v2, 4, v0
	s_addc_u32 s1, s1, s29
	s_mov_b32 s31, 0
	v_lshl_add_u64 v[2:3], s[0:1], 0, v[2:3]
	v_lshl_add_u64 v[8:9], v[2:3], 0, 8
	s_lshl_b32 s34, s16, 4
	s_mov_b32 s35, s31
	s_mov_b64 s[36:37], 0
	s_mov_b32 s39, 0x7f800000
	s_mov_b32 s40, 0x43e00000
	v_mov_b32_e32 v1, 0xc3e00000
	s_mov_b32 s41, 0x4020c0c
	v_mov_b32_e32 v10, v0
.LBB17_46:                              ; =>This Inner Loop Header: Depth=1
	global_load_dwordx4 v[2:5], v[8:9], off offset:-8
	v_add_u32_e32 v10, s16, v10
	v_cmp_le_i32_e32 vcc, s38, v10
	s_or_b64 s[36:37], vcc, s[36:37]
	v_mov_b32_e32 v11, 0
	v_mov_b32_e32 v12, 0
	;; [unrolled: 1-line block ×4, first 2 shown]
	v_lshl_add_u64 v[8:9], v[8:9], 0, s[34:35]
	s_waitcnt vmcnt(0)
	v_div_scale_f32 v15, s[0:1], s62, s62, v2
	v_div_scale_f32 v17, s[0:1], s62, s62, v3
	v_rcp_f32_e32 v23, v15
	v_div_scale_f32 v19, s[2:3], s62, s62, v4
	v_rcp_f32_e32 v24, v17
	v_rcp_f32_e32 v25, v19
	v_div_scale_f32 v21, s[4:5], s62, s62, v5
	v_rcp_f32_e32 v26, v21
	v_fma_f32 v27, -v15, v23, 1.0
	v_div_scale_f32 v16, vcc, v2, s62, v2
	v_fma_f32 v28, -v17, v24, 1.0
	v_fmac_f32_e32 v23, v27, v23
	v_div_scale_f32 v18, s[0:1], v3, s62, v3
	v_fma_f32 v29, -v19, v25, 1.0
	v_fmac_f32_e32 v24, v28, v24
	v_mul_f32_e32 v27, v16, v23
	v_div_scale_f32 v20, s[2:3], v4, s62, v4
	v_fmac_f32_e32 v25, v29, v25
	v_mul_f32_e32 v28, v18, v24
	v_fma_f32 v31, -v15, v27, v16
	v_fma_f32 v30, -v21, v26, 1.0
	v_mul_f32_e32 v29, v20, v25
	v_fma_f32 v32, -v17, v28, v18
	v_fmac_f32_e32 v27, v31, v23
	v_div_scale_f32 v22, s[4:5], v5, s62, v5
	v_fmac_f32_e32 v26, v30, v26
	v_fma_f32 v33, -v19, v29, v20
	v_fmac_f32_e32 v28, v32, v24
	v_fma_f32 v15, -v15, v27, v16
	v_mul_f32_e32 v30, v22, v26
	v_fmac_f32_e32 v29, v33, v25
	v_fma_f32 v16, -v17, v28, v18
	v_div_fmas_f32 v15, v15, v23, v27
	s_mov_b64 vcc, s[0:1]
	v_fma_f32 v34, -v21, v30, v22
	v_fma_f32 v17, -v19, v29, v20
	v_div_fixup_f32 v2, v15, s62, v2
	v_div_fmas_f32 v15, v16, v24, v28
	s_mov_b64 vcc, s[2:3]
	v_fmac_f32_e32 v30, v34, v26
	v_med3_f32 v16, v2, s40, v1
	v_div_fixup_f32 v3, v15, s62, v3
	v_div_fmas_f32 v15, v17, v25, v29
	v_cmp_nlg_f32_e64 vcc, |v2|, s39
	v_fma_f32 v18, -v21, v30, v22
	v_cmp_nlg_f32_e64 s[0:1], |v3|, s39
	v_cndmask_b32_e32 v2, v16, v2, vcc
	s_mov_b64 vcc, s[4:5]
	v_med3_f32 v16, v3, s40, v1
	v_div_fixup_f32 v4, v15, s62, v4
	v_div_fmas_f32 v15, v18, v26, v30
	v_cvt_pk_fp8_f32 v11, v2, v2
	v_cndmask_b32_e64 v2, v16, v3, s[0:1]
	v_med3_f32 v3, v4, s40, v1
	v_cmp_nlg_f32_e64 vcc, |v4|, s39
	v_div_fixup_f32 v5, v15, s62, v5
	v_cvt_pk_fp8_f32 v12, v2, v2
	v_cndmask_b32_e32 v2, v3, v4, vcc
	v_med3_f32 v3, v5, s40, v1
	v_cmp_nlg_f32_e64 vcc, |v5|, s39
	v_cvt_pk_fp8_f32 v13, v2, v2
	v_lshlrev_b32_e32 v4, 16, v13
	v_cndmask_b32_e32 v2, v3, v5, vcc
	v_cvt_pk_fp8_f32 v14, v2, v2
	v_lshlrev_b32_e32 v3, 8, v12
	v_and_b32_e32 v2, 0xff, v11
	v_and_b32_e32 v3, 0xff00, v3
	v_perm_b32 v4, v14, v4, s41
	v_or3_b32 v2, v4, v3, v2
	global_store_dword v[6:7], v2, off
	v_lshl_add_u64 v[6:7], v[6:7], 0, s[30:31]
	s_andn2_b64 exec, exec, s[36:37]
	s_cbranch_execnz .LBB17_46
.LBB17_47:
	s_or_b64 exec, exec, s[24:25]
	v_lshl_add_u32 v2, s38, 2, v0
	v_cmp_gt_i32_e32 vcc, s17, v2
	s_and_saveexec_b64 s[0:1], vcc
	s_cbranch_execz .LBB17_50
; %bb.48:
	s_lshl_b64 s[4:5], s[20:21], 2
	s_add_u32 s2, s28, s4
	s_addc_u32 s5, s29, s5
	s_add_u32 s4, s8, s2
	v_ashrrev_i32_e32 v3, 31, v2
	s_addc_u32 s5, s9, s5
	s_lshl_b32 s2, s16, 2
	v_lshl_add_u64 v[4:5], v[2:3], 2, s[4:5]
	s_add_u32 s4, s20, s59
	s_addc_u32 s5, s21, s58
	s_add_u32 s4, s4, s61
	s_addc_u32 s5, s5, s60
	;; [unrolled: 2-line block ×3, first 2 shown]
	s_mov_b32 s3, 0
	v_lshl_add_u64 v[6:7], s[4:5], 0, v[2:3]
	s_mov_b64 s[4:5], 0
	s_mov_b32 s24, 0x7f800000
	s_mov_b32 s25, 0x43e00000
	v_mov_b32_e32 v1, 0xc3e00000
	s_mov_b64 s[20:21], 0
.LBB17_49:                              ; =>This Inner Loop Header: Depth=1
	global_load_dword v3, v[4:5], off
	v_mov_b32_e32 v10, 0
	v_lshl_add_u64 v[8:9], v[6:7], 0, s[20:21]
	s_add_u32 s20, s20, s16
	s_addc_u32 s21, s21, 0
	v_lshl_add_u64 v[4:5], v[4:5], 0, s[2:3]
	s_waitcnt vmcnt(0)
	v_div_scale_f32 v11, s[30:31], s62, s62, v3
	v_rcp_f32_e32 v12, v11
	v_div_scale_f32 v13, vcc, v3, s62, v3
	v_fma_f32 v14, -v11, v12, 1.0
	v_fmac_f32_e32 v12, v14, v12
	v_mul_f32_e32 v14, v13, v12
	v_fma_f32 v15, -v11, v14, v13
	v_fmac_f32_e32 v14, v15, v12
	v_fma_f32 v11, -v11, v14, v13
	v_div_fmas_f32 v11, v11, v12, v14
	v_div_fixup_f32 v3, v11, s62, v3
	v_med3_f32 v11, v3, s25, v1
	v_cmp_nlg_f32_e64 vcc, |v3|, s24
	s_nop 1
	v_cndmask_b32_e32 v3, v11, v3, vcc
	v_cvt_pk_fp8_f32 v10, v3, v3
	v_add_u32_e32 v3, s20, v2
	v_cmp_le_i32_e32 vcc, s17, v3
	s_or_b64 s[4:5], vcc, s[4:5]
	global_store_byte v[8:9], v10, off
	s_andn2_b64 exec, exec, s[4:5]
	s_cbranch_execnz .LBB17_49
.LBB17_50:
	s_or_b64 exec, exec, s[0:1]
	s_mov_b64 s[0:1], 0
.LBB17_51:
	s_and_b64 vcc, exec, s[0:1]
	s_cbranch_vccz .LBB17_56
; %bb.52:
	s_ashr_i32 s17, s27, 2
	v_cmp_gt_i32_e32 vcc, s17, v0
	s_and_saveexec_b64 s[20:21], vcc
	s_cbranch_execz .LBB17_55
; %bb.53:
	s_add_u32 s0, s59, s61
	s_addc_u32 s1, s58, s60
	s_add_u32 s0, s12, s0
	v_lshlrev_b32_e32 v2, 2, v0
	v_mov_b32_e32 v3, 0
	s_addc_u32 s1, s13, s1
	s_lshl_b32 s24, s16, 2
	v_lshl_add_u64 v[6:7], s[0:1], 0, v[2:3]
	s_add_u32 s0, s8, s28
	v_lshlrev_b32_e32 v2, 4, v0
	s_addc_u32 s1, s9, s29
	s_mov_b32 s25, 0
	v_lshl_add_u64 v[2:3], s[0:1], 0, v[2:3]
	v_lshl_add_u64 v[8:9], v[2:3], 0, 8
	s_lshl_b32 s8, s16, 4
	s_mov_b32 s9, s25
	s_mov_b64 s[12:13], 0
	s_mov_b32 s28, 0x7f800000
	s_mov_b32 s29, 0x43e00000
	v_mov_b32_e32 v1, 0xc3e00000
	s_mov_b32 s30, 0x4020c0c
	v_mov_b32_e32 v10, v0
.LBB17_54:                              ; =>This Inner Loop Header: Depth=1
	global_load_dwordx4 v[2:5], v[8:9], off offset:-8
	v_add_u32_e32 v10, s16, v10
	v_cmp_le_i32_e32 vcc, s17, v10
	s_or_b64 s[12:13], vcc, s[12:13]
	v_mov_b32_e32 v11, 0
	v_mov_b32_e32 v12, 0
	;; [unrolled: 1-line block ×4, first 2 shown]
	v_lshl_add_u64 v[8:9], v[8:9], 0, s[8:9]
	s_waitcnt vmcnt(0)
	v_div_scale_f32 v15, s[0:1], s62, s62, v2
	v_div_scale_f32 v17, s[0:1], s62, s62, v3
	v_rcp_f32_e32 v23, v15
	v_div_scale_f32 v19, s[2:3], s62, s62, v4
	v_rcp_f32_e32 v24, v17
	v_rcp_f32_e32 v25, v19
	v_div_scale_f32 v21, s[4:5], s62, s62, v5
	v_rcp_f32_e32 v26, v21
	v_fma_f32 v27, -v15, v23, 1.0
	v_div_scale_f32 v16, vcc, v2, s62, v2
	v_fma_f32 v28, -v17, v24, 1.0
	v_fmac_f32_e32 v23, v27, v23
	v_div_scale_f32 v18, s[0:1], v3, s62, v3
	v_fma_f32 v29, -v19, v25, 1.0
	v_fmac_f32_e32 v24, v28, v24
	v_mul_f32_e32 v27, v16, v23
	v_div_scale_f32 v20, s[2:3], v4, s62, v4
	v_fmac_f32_e32 v25, v29, v25
	v_mul_f32_e32 v28, v18, v24
	v_fma_f32 v31, -v15, v27, v16
	v_fma_f32 v30, -v21, v26, 1.0
	v_mul_f32_e32 v29, v20, v25
	v_fma_f32 v32, -v17, v28, v18
	v_fmac_f32_e32 v27, v31, v23
	v_div_scale_f32 v22, s[4:5], v5, s62, v5
	v_fmac_f32_e32 v26, v30, v26
	v_fma_f32 v33, -v19, v29, v20
	v_fmac_f32_e32 v28, v32, v24
	v_fma_f32 v15, -v15, v27, v16
	v_mul_f32_e32 v30, v22, v26
	v_fmac_f32_e32 v29, v33, v25
	v_fma_f32 v16, -v17, v28, v18
	v_div_fmas_f32 v15, v15, v23, v27
	s_mov_b64 vcc, s[0:1]
	v_fma_f32 v34, -v21, v30, v22
	v_fma_f32 v17, -v19, v29, v20
	v_div_fixup_f32 v2, v15, s62, v2
	v_div_fmas_f32 v15, v16, v24, v28
	s_mov_b64 vcc, s[2:3]
	v_fmac_f32_e32 v30, v34, v26
	v_med3_f32 v16, v2, s29, v1
	v_div_fixup_f32 v3, v15, s62, v3
	v_div_fmas_f32 v15, v17, v25, v29
	v_cmp_nlg_f32_e64 vcc, |v2|, s28
	v_fma_f32 v18, -v21, v30, v22
	v_cmp_nlg_f32_e64 s[0:1], |v3|, s28
	v_cndmask_b32_e32 v2, v16, v2, vcc
	s_mov_b64 vcc, s[4:5]
	v_med3_f32 v16, v3, s29, v1
	v_div_fixup_f32 v4, v15, s62, v4
	v_div_fmas_f32 v15, v18, v26, v30
	v_cvt_pk_fp8_f32 v11, v2, v2
	v_cndmask_b32_e64 v2, v16, v3, s[0:1]
	v_med3_f32 v3, v4, s29, v1
	v_cmp_nlg_f32_e64 vcc, |v4|, s28
	v_div_fixup_f32 v5, v15, s62, v5
	v_cvt_pk_fp8_f32 v12, v2, v2
	v_cndmask_b32_e32 v2, v3, v4, vcc
	v_med3_f32 v3, v5, s29, v1
	v_cmp_nlg_f32_e64 vcc, |v5|, s28
	v_cvt_pk_fp8_f32 v13, v2, v2
	v_lshlrev_b32_e32 v4, 16, v13
	v_cndmask_b32_e32 v2, v3, v5, vcc
	v_cvt_pk_fp8_f32 v14, v2, v2
	v_lshlrev_b32_e32 v3, 8, v12
	v_and_b32_e32 v2, 0xff, v11
	v_and_b32_e32 v3, 0xff00, v3
	v_perm_b32 v4, v14, v4, s30
	v_or3_b32 v2, v4, v3, v2
	global_store_dword v[6:7], v2, off
	v_lshl_add_u64 v[6:7], v[6:7], 0, s[24:25]
	s_andn2_b64 exec, exec, s[12:13]
	s_cbranch_execnz .LBB17_54
.LBB17_55:
	s_or_b64 exec, exec, s[20:21]
.LBB17_56:
	s_and_b32 s0, s26, 15
	s_mov_b32 s1, 0
	s_cmp_lg_u64 s[0:1], 0
	s_cselect_b64 s[2:3], -1, 0
	s_xor_b64 s[4:5], s[6:7], -1
	s_or_b64 s[2:3], s[4:5], s[2:3]
	s_mov_b64 s[0:1], -1
	s_and_b64 vcc, exec, s[2:3]
	s_cbranch_vccz .LBB17_67
; %bb.57:
	s_sub_i32 s0, 0, s26
	s_bfe_u32 s0, s0, 0x20002
	s_min_i32 s6, s0, s27
	v_cmp_gt_i32_e32 vcc, s6, v0
	s_and_saveexec_b64 s[0:1], vcc
	s_cbranch_execz .LBB17_60
; %bb.58:
	v_mov_b32_e32 v1, 0
	s_add_u32 s2, s10, s22
	s_mov_b32 s17, 0
	v_lshlrev_b32_e32 v2, 2, v0
	v_mov_b32_e32 v3, v1
	s_addc_u32 s3, s11, s23
	v_lshl_add_u64 v[2:3], s[2:3], 0, v[2:3]
	s_lshl_b32 s2, s16, 2
	s_mov_b32 s3, s17
	s_mov_b64 s[4:5], 0
	s_mov_b32 s7, 0x7f800000
	s_mov_b32 s8, 0x43e00000
	v_mov_b32_e32 v6, 0xc3e00000
	v_mov_b64_e32 v[4:5], v[0:1]
.LBB17_59:                              ; =>This Inner Loop Header: Depth=1
	global_load_dword v1, v[2:3], off
	v_mov_b32_e32 v7, 0
	v_lshl_add_u64 v[8:9], s[18:19], 0, v[4:5]
	v_lshl_add_u64 v[4:5], v[4:5], 0, s[16:17]
	;; [unrolled: 1-line block ×3, first 2 shown]
	s_waitcnt vmcnt(0)
	v_div_scale_f32 v10, s[12:13], s33, s33, v1
	v_rcp_f32_e32 v11, v10
	v_div_scale_f32 v12, vcc, v1, s33, v1
	v_fma_f32 v13, -v10, v11, 1.0
	v_fmac_f32_e32 v11, v13, v11
	v_mul_f32_e32 v13, v12, v11
	v_fma_f32 v14, -v10, v13, v12
	v_fmac_f32_e32 v13, v14, v11
	v_fma_f32 v10, -v10, v13, v12
	v_div_fmas_f32 v10, v10, v11, v13
	v_div_fixup_f32 v1, v10, s33, v1
	v_med3_f32 v10, v1, s8, v6
	v_cmp_nlg_f32_e64 vcc, |v1|, s7
	s_nop 1
	v_cndmask_b32_e32 v1, v10, v1, vcc
	v_cvt_pk_fp8_f32 v7, v1, v1
	v_cmp_le_i32_e32 vcc, s6, v4
	s_or_b64 s[4:5], vcc, s[4:5]
	global_store_byte v[8:9], v7, off
	s_andn2_b64 exec, exec, s[4:5]
	s_cbranch_execnz .LBB17_59
.LBB17_60:
	s_or_b64 exec, exec, s[0:1]
	s_sub_i32 s17, s27, s6
	s_ashr_i32 s0, s17, 31
	s_lshr_b32 s0, s0, 30
	s_add_i32 s0, s17, s0
	s_ashr_i32 s24, s0, 2
	s_ashr_i32 s7, s6, 31
	v_cmp_gt_i32_e32 vcc, s24, v0
	s_and_saveexec_b64 s[8:9], vcc
	s_cbranch_execz .LBB17_63
; %bb.61:
	s_add_u32 s0, s6, s59
	s_addc_u32 s1, s7, s58
	s_add_u32 s0, s0, s61
	s_addc_u32 s1, s1, s60
	s_add_u32 s0, s14, s0
	v_lshlrev_b32_e32 v2, 2, v0
	v_mov_b32_e32 v3, 0
	s_addc_u32 s1, s15, s1
	v_lshl_add_u64 v[6:7], s[0:1], 0, v[2:3]
	s_lshl_b32 s12, s16, 2
	s_lshl_b64 s[0:1], s[6:7], 2
	s_add_u32 s0, s10, s0
	s_addc_u32 s1, s11, s1
	s_add_u32 s0, s0, s22
	v_lshlrev_b32_e32 v2, 4, v0
	s_addc_u32 s1, s1, s23
	s_mov_b32 s13, 0
	v_lshl_add_u64 v[2:3], s[0:1], 0, v[2:3]
	v_lshl_add_u64 v[8:9], v[2:3], 0, 8
	s_lshl_b32 s18, s16, 4
	s_mov_b32 s19, s13
	s_mov_b64 s[20:21], 0
	s_mov_b32 s25, 0x7f800000
	s_mov_b32 s26, 0x43e00000
	v_mov_b32_e32 v1, 0xc3e00000
	s_mov_b32 s28, 0x4020c0c
	v_mov_b32_e32 v10, v0
.LBB17_62:                              ; =>This Inner Loop Header: Depth=1
	global_load_dwordx4 v[2:5], v[8:9], off offset:-8
	v_add_u32_e32 v10, s16, v10
	v_cmp_le_i32_e32 vcc, s24, v10
	s_or_b64 s[20:21], vcc, s[20:21]
	v_mov_b32_e32 v11, 0
	v_mov_b32_e32 v12, 0
	;; [unrolled: 1-line block ×4, first 2 shown]
	v_lshl_add_u64 v[8:9], v[8:9], 0, s[18:19]
	s_waitcnt vmcnt(0)
	v_div_scale_f32 v15, s[0:1], s33, s33, v2
	v_div_scale_f32 v17, s[0:1], s33, s33, v3
	v_rcp_f32_e32 v23, v15
	v_div_scale_f32 v19, s[2:3], s33, s33, v4
	v_rcp_f32_e32 v24, v17
	v_rcp_f32_e32 v25, v19
	v_div_scale_f32 v21, s[4:5], s33, s33, v5
	v_rcp_f32_e32 v26, v21
	v_fma_f32 v27, -v15, v23, 1.0
	v_div_scale_f32 v16, vcc, v2, s33, v2
	v_fma_f32 v28, -v17, v24, 1.0
	v_fmac_f32_e32 v23, v27, v23
	v_div_scale_f32 v18, s[0:1], v3, s33, v3
	v_fma_f32 v29, -v19, v25, 1.0
	v_fmac_f32_e32 v24, v28, v24
	v_mul_f32_e32 v27, v16, v23
	v_div_scale_f32 v20, s[2:3], v4, s33, v4
	v_fmac_f32_e32 v25, v29, v25
	v_mul_f32_e32 v28, v18, v24
	v_fma_f32 v31, -v15, v27, v16
	v_fma_f32 v30, -v21, v26, 1.0
	v_mul_f32_e32 v29, v20, v25
	v_fma_f32 v32, -v17, v28, v18
	v_fmac_f32_e32 v27, v31, v23
	v_div_scale_f32 v22, s[4:5], v5, s33, v5
	v_fmac_f32_e32 v26, v30, v26
	v_fma_f32 v33, -v19, v29, v20
	v_fmac_f32_e32 v28, v32, v24
	v_fma_f32 v15, -v15, v27, v16
	v_mul_f32_e32 v30, v22, v26
	v_fmac_f32_e32 v29, v33, v25
	v_fma_f32 v16, -v17, v28, v18
	v_div_fmas_f32 v15, v15, v23, v27
	s_mov_b64 vcc, s[0:1]
	v_fma_f32 v34, -v21, v30, v22
	v_fma_f32 v17, -v19, v29, v20
	v_div_fixup_f32 v2, v15, s33, v2
	v_div_fmas_f32 v15, v16, v24, v28
	s_mov_b64 vcc, s[2:3]
	v_fmac_f32_e32 v30, v34, v26
	v_med3_f32 v16, v2, s26, v1
	v_div_fixup_f32 v3, v15, s33, v3
	v_div_fmas_f32 v15, v17, v25, v29
	v_cmp_nlg_f32_e64 vcc, |v2|, s25
	v_fma_f32 v18, -v21, v30, v22
	v_cmp_nlg_f32_e64 s[0:1], |v3|, s25
	v_cndmask_b32_e32 v2, v16, v2, vcc
	s_mov_b64 vcc, s[4:5]
	v_med3_f32 v16, v3, s26, v1
	v_div_fixup_f32 v4, v15, s33, v4
	v_div_fmas_f32 v15, v18, v26, v30
	v_cvt_pk_fp8_f32 v11, v2, v2
	v_cndmask_b32_e64 v2, v16, v3, s[0:1]
	v_med3_f32 v3, v4, s26, v1
	v_cmp_nlg_f32_e64 vcc, |v4|, s25
	v_div_fixup_f32 v5, v15, s33, v5
	v_cvt_pk_fp8_f32 v12, v2, v2
	v_cndmask_b32_e32 v2, v3, v4, vcc
	v_med3_f32 v3, v5, s26, v1
	v_cmp_nlg_f32_e64 vcc, |v5|, s25
	v_cvt_pk_fp8_f32 v13, v2, v2
	v_lshlrev_b32_e32 v4, 16, v13
	v_cndmask_b32_e32 v2, v3, v5, vcc
	v_cvt_pk_fp8_f32 v14, v2, v2
	v_lshlrev_b32_e32 v3, 8, v12
	v_and_b32_e32 v2, 0xff, v11
	v_and_b32_e32 v3, 0xff00, v3
	v_perm_b32 v4, v14, v4, s28
	v_or3_b32 v2, v4, v3, v2
	global_store_dword v[6:7], v2, off
	v_lshl_add_u64 v[6:7], v[6:7], 0, s[12:13]
	s_andn2_b64 exec, exec, s[20:21]
	s_cbranch_execnz .LBB17_62
.LBB17_63:
	s_or_b64 exec, exec, s[8:9]
	v_lshl_add_u32 v2, s24, 2, v0
	v_cmp_gt_i32_e32 vcc, s17, v2
	s_and_saveexec_b64 s[0:1], vcc
	s_cbranch_execz .LBB17_66
; %bb.64:
	s_lshl_b64 s[4:5], s[6:7], 2
	s_add_u32 s2, s22, s4
	s_addc_u32 s5, s23, s5
	s_add_u32 s4, s10, s2
	v_ashrrev_i32_e32 v3, 31, v2
	s_addc_u32 s5, s11, s5
	s_lshl_b32 s2, s16, 2
	v_lshl_add_u64 v[4:5], v[2:3], 2, s[4:5]
	s_add_u32 s4, s6, s59
	s_addc_u32 s5, s7, s58
	s_add_u32 s4, s4, s61
	s_addc_u32 s5, s5, s60
	s_add_u32 s4, s14, s4
	s_addc_u32 s5, s15, s5
	s_mov_b32 s3, 0
	v_lshl_add_u64 v[6:7], s[4:5], 0, v[2:3]
	s_mov_b64 s[4:5], 0
	s_mov_b32 s8, 0x7f800000
	s_mov_b32 s9, 0x43e00000
	v_mov_b32_e32 v1, 0xc3e00000
	s_mov_b64 s[6:7], 0
.LBB17_65:                              ; =>This Inner Loop Header: Depth=1
	global_load_dword v3, v[4:5], off
	v_mov_b32_e32 v10, 0
	v_lshl_add_u64 v[8:9], v[6:7], 0, s[6:7]
	s_add_u32 s6, s6, s16
	s_addc_u32 s7, s7, 0
	v_lshl_add_u64 v[4:5], v[4:5], 0, s[2:3]
	s_waitcnt vmcnt(0)
	v_div_scale_f32 v11, s[12:13], s33, s33, v3
	v_rcp_f32_e32 v12, v11
	v_div_scale_f32 v13, vcc, v3, s33, v3
	v_fma_f32 v14, -v11, v12, 1.0
	v_fmac_f32_e32 v12, v14, v12
	v_mul_f32_e32 v14, v13, v12
	v_fma_f32 v15, -v11, v14, v13
	v_fmac_f32_e32 v14, v15, v12
	v_fma_f32 v11, -v11, v14, v13
	v_div_fmas_f32 v11, v11, v12, v14
	v_div_fixup_f32 v3, v11, s33, v3
	v_med3_f32 v11, v3, s9, v1
	v_cmp_nlg_f32_e64 vcc, |v3|, s8
	s_nop 1
	v_cndmask_b32_e32 v3, v11, v3, vcc
	v_cvt_pk_fp8_f32 v10, v3, v3
	v_add_u32_e32 v3, s6, v2
	v_cmp_le_i32_e32 vcc, s17, v3
	s_or_b64 s[4:5], vcc, s[4:5]
	global_store_byte v[8:9], v10, off
	s_andn2_b64 exec, exec, s[4:5]
	s_cbranch_execnz .LBB17_65
.LBB17_66:
	s_or_b64 exec, exec, s[0:1]
	s_mov_b64 s[0:1], 0
.LBB17_67:
	s_and_b64 vcc, exec, s[0:1]
	s_cbranch_vccz .LBB17_71
; %bb.68:
	s_ashr_i32 s12, s27, 2
	v_cmp_gt_i32_e32 vcc, s12, v0
	s_and_saveexec_b64 s[0:1], vcc
	s_cbranch_execz .LBB17_71
; %bb.69:
	s_add_u32 s0, s59, s61
	s_addc_u32 s1, s58, s60
	s_add_u32 s0, s14, s0
	v_lshlrev_b32_e32 v2, 2, v0
	v_mov_b32_e32 v3, 0
	s_addc_u32 s1, s15, s1
	s_lshl_b32 s6, s16, 2
	v_lshl_add_u64 v[6:7], s[0:1], 0, v[2:3]
	s_add_u32 s0, s10, s22
	v_lshlrev_b32_e32 v2, 4, v0
	s_addc_u32 s1, s11, s23
	s_mov_b32 s7, 0
	v_lshl_add_u64 v[2:3], s[0:1], 0, v[2:3]
	v_lshl_add_u64 v[8:9], v[2:3], 0, 8
	s_lshl_b32 s8, s16, 4
	s_mov_b32 s9, s7
	s_mov_b64 s[10:11], 0
	s_mov_b32 s13, 0x7f800000
	s_mov_b32 s14, 0x43e00000
	v_mov_b32_e32 v1, 0xc3e00000
	s_mov_b32 s15, 0x4020c0c
.LBB17_70:                              ; =>This Inner Loop Header: Depth=1
	global_load_dwordx4 v[2:5], v[8:9], off offset:-8
	v_add_u32_e32 v0, s16, v0
	v_cmp_le_i32_e32 vcc, s12, v0
	s_or_b64 s[10:11], vcc, s[10:11]
	v_mov_b32_e32 v10, 0
	v_mov_b32_e32 v11, 0
	;; [unrolled: 1-line block ×4, first 2 shown]
	v_lshl_add_u64 v[8:9], v[8:9], 0, s[8:9]
	s_waitcnt vmcnt(0)
	v_div_scale_f32 v14, s[0:1], s33, s33, v2
	v_div_scale_f32 v16, s[0:1], s33, s33, v3
	v_rcp_f32_e32 v22, v14
	v_div_scale_f32 v18, s[2:3], s33, s33, v4
	v_rcp_f32_e32 v23, v16
	v_rcp_f32_e32 v24, v18
	v_div_scale_f32 v20, s[4:5], s33, s33, v5
	v_rcp_f32_e32 v25, v20
	v_fma_f32 v26, -v14, v22, 1.0
	v_div_scale_f32 v15, vcc, v2, s33, v2
	v_fma_f32 v27, -v16, v23, 1.0
	v_fmac_f32_e32 v22, v26, v22
	v_div_scale_f32 v17, s[0:1], v3, s33, v3
	v_fma_f32 v28, -v18, v24, 1.0
	v_fmac_f32_e32 v23, v27, v23
	v_mul_f32_e32 v26, v15, v22
	v_div_scale_f32 v19, s[2:3], v4, s33, v4
	v_fmac_f32_e32 v24, v28, v24
	v_mul_f32_e32 v27, v17, v23
	v_fma_f32 v30, -v14, v26, v15
	v_fma_f32 v29, -v20, v25, 1.0
	v_mul_f32_e32 v28, v19, v24
	v_fma_f32 v31, -v16, v27, v17
	v_fmac_f32_e32 v26, v30, v22
	v_div_scale_f32 v21, s[4:5], v5, s33, v5
	v_fmac_f32_e32 v25, v29, v25
	v_fma_f32 v32, -v18, v28, v19
	v_fmac_f32_e32 v27, v31, v23
	v_fma_f32 v14, -v14, v26, v15
	v_mul_f32_e32 v29, v21, v25
	v_fmac_f32_e32 v28, v32, v24
	v_fma_f32 v15, -v16, v27, v17
	v_div_fmas_f32 v14, v14, v22, v26
	s_mov_b64 vcc, s[0:1]
	v_fma_f32 v33, -v20, v29, v21
	v_fma_f32 v16, -v18, v28, v19
	v_div_fixup_f32 v2, v14, s33, v2
	v_div_fmas_f32 v14, v15, v23, v27
	s_mov_b64 vcc, s[2:3]
	v_fmac_f32_e32 v29, v33, v25
	v_med3_f32 v15, v2, s14, v1
	v_div_fixup_f32 v3, v14, s33, v3
	v_div_fmas_f32 v14, v16, v24, v28
	v_cmp_nlg_f32_e64 vcc, |v2|, s13
	v_fma_f32 v17, -v20, v29, v21
	v_cmp_nlg_f32_e64 s[0:1], |v3|, s13
	v_cndmask_b32_e32 v2, v15, v2, vcc
	s_mov_b64 vcc, s[4:5]
	v_med3_f32 v15, v3, s14, v1
	v_div_fixup_f32 v4, v14, s33, v4
	v_div_fmas_f32 v14, v17, v25, v29
	v_cvt_pk_fp8_f32 v10, v2, v2
	v_cndmask_b32_e64 v2, v15, v3, s[0:1]
	v_med3_f32 v3, v4, s14, v1
	v_cmp_nlg_f32_e64 vcc, |v4|, s13
	v_div_fixup_f32 v5, v14, s33, v5
	v_cvt_pk_fp8_f32 v11, v2, v2
	v_cndmask_b32_e32 v2, v3, v4, vcc
	v_med3_f32 v3, v5, s14, v1
	v_cmp_nlg_f32_e64 vcc, |v5|, s13
	v_cvt_pk_fp8_f32 v12, v2, v2
	v_lshlrev_b32_e32 v4, 16, v12
	v_cndmask_b32_e32 v2, v3, v5, vcc
	v_cvt_pk_fp8_f32 v13, v2, v2
	v_lshlrev_b32_e32 v3, 8, v11
	v_and_b32_e32 v2, 0xff, v10
	v_and_b32_e32 v3, 0xff00, v3
	v_perm_b32 v4, v13, v4, s15
	v_or3_b32 v2, v4, v3, v2
	global_store_dword v[6:7], v2, off
	v_lshl_add_u64 v[6:7], v[6:7], 0, s[6:7]
	s_andn2_b64 exec, exec, s[10:11]
	s_cbranch_execnz .LBB17_70
.LBB17_71:
	s_endpgm
.LBB17_72:
                                        ; implicit-def: $sgpr30_sgpr31
	s_branch .LBB17_3
	.section	.rodata,"a",@progbits
	.p2align	6, 0x0
	.amdhsa_kernel _ZN4vllm30reshape_and_cache_flash_kernelIfhLNS_18Fp8KVCacheDataTypeE1EEEvPKT_S4_PT0_S6_PKlllllliiiPKfSA_
		.amdhsa_group_segment_fixed_size 0
		.amdhsa_private_segment_fixed_size 0
		.amdhsa_kernarg_size 368
		.amdhsa_user_sgpr_count 2
		.amdhsa_user_sgpr_dispatch_ptr 0
		.amdhsa_user_sgpr_queue_ptr 0
		.amdhsa_user_sgpr_kernarg_segment_ptr 1
		.amdhsa_user_sgpr_dispatch_id 0
		.amdhsa_user_sgpr_kernarg_preload_length 0
		.amdhsa_user_sgpr_kernarg_preload_offset 0
		.amdhsa_user_sgpr_private_segment_size 0
		.amdhsa_uses_dynamic_stack 0
		.amdhsa_enable_private_segment 0
		.amdhsa_system_sgpr_workgroup_id_x 1
		.amdhsa_system_sgpr_workgroup_id_y 0
		.amdhsa_system_sgpr_workgroup_id_z 0
		.amdhsa_system_sgpr_workgroup_info 0
		.amdhsa_system_vgpr_workitem_id 0
		.amdhsa_next_free_vgpr 69
		.amdhsa_next_free_sgpr 68
		.amdhsa_accum_offset 72
		.amdhsa_reserve_vcc 1
		.amdhsa_float_round_mode_32 0
		.amdhsa_float_round_mode_16_64 0
		.amdhsa_float_denorm_mode_32 3
		.amdhsa_float_denorm_mode_16_64 3
		.amdhsa_dx10_clamp 1
		.amdhsa_ieee_mode 1
		.amdhsa_fp16_overflow 0
		.amdhsa_tg_split 0
		.amdhsa_exception_fp_ieee_invalid_op 0
		.amdhsa_exception_fp_denorm_src 0
		.amdhsa_exception_fp_ieee_div_zero 0
		.amdhsa_exception_fp_ieee_overflow 0
		.amdhsa_exception_fp_ieee_underflow 0
		.amdhsa_exception_fp_ieee_inexact 0
		.amdhsa_exception_int_div_zero 0
	.end_amdhsa_kernel
	.section	.text._ZN4vllm30reshape_and_cache_flash_kernelIfhLNS_18Fp8KVCacheDataTypeE1EEEvPKT_S4_PT0_S6_PKlllllliiiPKfSA_,"axG",@progbits,_ZN4vllm30reshape_and_cache_flash_kernelIfhLNS_18Fp8KVCacheDataTypeE1EEEvPKT_S4_PT0_S6_PKlllllliiiPKfSA_,comdat
.Lfunc_end17:
	.size	_ZN4vllm30reshape_and_cache_flash_kernelIfhLNS_18Fp8KVCacheDataTypeE1EEEvPKT_S4_PT0_S6_PKlllllliiiPKfSA_, .Lfunc_end17-_ZN4vllm30reshape_and_cache_flash_kernelIfhLNS_18Fp8KVCacheDataTypeE1EEEvPKT_S4_PT0_S6_PKlllllliiiPKfSA_
                                        ; -- End function
	.set _ZN4vllm30reshape_and_cache_flash_kernelIfhLNS_18Fp8KVCacheDataTypeE1EEEvPKT_S4_PT0_S6_PKlllllliiiPKfSA_.num_vgpr, 69
	.set _ZN4vllm30reshape_and_cache_flash_kernelIfhLNS_18Fp8KVCacheDataTypeE1EEEvPKT_S4_PT0_S6_PKlllllliiiPKfSA_.num_agpr, 0
	.set _ZN4vllm30reshape_and_cache_flash_kernelIfhLNS_18Fp8KVCacheDataTypeE1EEEvPKT_S4_PT0_S6_PKlllllliiiPKfSA_.numbered_sgpr, 68
	.set _ZN4vllm30reshape_and_cache_flash_kernelIfhLNS_18Fp8KVCacheDataTypeE1EEEvPKT_S4_PT0_S6_PKlllllliiiPKfSA_.num_named_barrier, 0
	.set _ZN4vllm30reshape_and_cache_flash_kernelIfhLNS_18Fp8KVCacheDataTypeE1EEEvPKT_S4_PT0_S6_PKlllllliiiPKfSA_.private_seg_size, 0
	.set _ZN4vllm30reshape_and_cache_flash_kernelIfhLNS_18Fp8KVCacheDataTypeE1EEEvPKT_S4_PT0_S6_PKlllllliiiPKfSA_.uses_vcc, 1
	.set _ZN4vllm30reshape_and_cache_flash_kernelIfhLNS_18Fp8KVCacheDataTypeE1EEEvPKT_S4_PT0_S6_PKlllllliiiPKfSA_.uses_flat_scratch, 0
	.set _ZN4vllm30reshape_and_cache_flash_kernelIfhLNS_18Fp8KVCacheDataTypeE1EEEvPKT_S4_PT0_S6_PKlllllliiiPKfSA_.has_dyn_sized_stack, 0
	.set _ZN4vllm30reshape_and_cache_flash_kernelIfhLNS_18Fp8KVCacheDataTypeE1EEEvPKT_S4_PT0_S6_PKlllllliiiPKfSA_.has_recursion, 0
	.set _ZN4vllm30reshape_and_cache_flash_kernelIfhLNS_18Fp8KVCacheDataTypeE1EEEvPKT_S4_PT0_S6_PKlllllliiiPKfSA_.has_indirect_call, 0
	.section	.AMDGPU.csdata,"",@progbits
; Kernel info:
; codeLenInByte = 8624
; TotalNumSgprs: 74
; NumVgprs: 69
; NumAgprs: 0
; TotalNumVgprs: 69
; ScratchSize: 0
; MemoryBound: 0
; FloatMode: 240
; IeeeMode: 1
; LDSByteSize: 0 bytes/workgroup (compile time only)
; SGPRBlocks: 9
; VGPRBlocks: 8
; NumSGPRsForWavesPerEU: 74
; NumVGPRsForWavesPerEU: 69
; AccumOffset: 72
; Occupancy: 7
; WaveLimiterHint : 1
; COMPUTE_PGM_RSRC2:SCRATCH_EN: 0
; COMPUTE_PGM_RSRC2:USER_SGPR: 2
; COMPUTE_PGM_RSRC2:TRAP_HANDLER: 0
; COMPUTE_PGM_RSRC2:TGID_X_EN: 1
; COMPUTE_PGM_RSRC2:TGID_Y_EN: 0
; COMPUTE_PGM_RSRC2:TGID_Z_EN: 0
; COMPUTE_PGM_RSRC2:TIDIG_COMP_CNT: 0
; COMPUTE_PGM_RSRC3_GFX90A:ACCUM_OFFSET: 17
; COMPUTE_PGM_RSRC3_GFX90A:TG_SPLIT: 0
	.section	.text._ZN4vllm30reshape_and_cache_flash_kernelIthLNS_18Fp8KVCacheDataTypeE1EEEvPKT_S4_PT0_S6_PKlllllliiiPKfSA_,"axG",@progbits,_ZN4vllm30reshape_and_cache_flash_kernelIthLNS_18Fp8KVCacheDataTypeE1EEEvPKT_S4_PT0_S6_PKlllllliiiPKfSA_,comdat
	.protected	_ZN4vllm30reshape_and_cache_flash_kernelIthLNS_18Fp8KVCacheDataTypeE1EEEvPKT_S4_PT0_S6_PKlllllliiiPKfSA_ ; -- Begin function _ZN4vllm30reshape_and_cache_flash_kernelIthLNS_18Fp8KVCacheDataTypeE1EEEvPKT_S4_PT0_S6_PKlllllliiiPKfSA_
	.globl	_ZN4vllm30reshape_and_cache_flash_kernelIthLNS_18Fp8KVCacheDataTypeE1EEEvPKT_S4_PT0_S6_PKlllllliiiPKfSA_
	.p2align	8
	.type	_ZN4vllm30reshape_and_cache_flash_kernelIthLNS_18Fp8KVCacheDataTypeE1EEEvPKT_S4_PT0_S6_PKlllllliiiPKfSA_,@function
_ZN4vllm30reshape_and_cache_flash_kernelIthLNS_18Fp8KVCacheDataTypeE1EEEvPKT_S4_PT0_S6_PKlllllliiiPKfSA_: ; @_ZN4vllm30reshape_and_cache_flash_kernelIthLNS_18Fp8KVCacheDataTypeE1EEEvPKT_S4_PT0_S6_PKlllllliiiPKfSA_
; %bb.0:
	s_load_dwordx2 s[4:5], s[0:1], 0x20
	s_mov_b32 s3, 0
	s_lshl_b64 s[6:7], s[2:3], 3
	s_waitcnt lgkmcnt(0)
	s_add_u32 s4, s4, s6
	s_addc_u32 s5, s5, s7
	s_load_dwordx2 s[8:9], s[4:5], 0x0
	s_waitcnt lgkmcnt(0)
	v_cmp_lt_i64_e64 s[4:5], s[8:9], 0
	s_and_b64 vcc, exec, s[4:5]
	s_cbranch_vccnz .LBB18_71
; %bb.1:
	s_load_dwordx4 s[36:39], s[0:1], 0x50
	s_load_dwordx8 s[16:23], s[0:1], 0x0
	s_waitcnt lgkmcnt(0)
	s_ashr_i32 s39, s38, 31
	s_or_b64 s[4:5], s[8:9], s[38:39]
	s_mov_b32 s4, s3
	s_cmp_lg_u64 s[4:5], 0
	s_cbranch_scc0 .LBB18_72
; %bb.2:
	s_ashr_i32 s4, s39, 31
	s_add_u32 s6, s38, s4
	s_mov_b32 s5, s4
	s_addc_u32 s7, s39, s4
	s_xor_b64 s[10:11], s[6:7], s[4:5]
	v_cvt_f32_u32_e32 v1, s10
	v_cvt_f32_u32_e32 v2, s11
	s_sub_u32 s3, 0, s10
	s_subb_u32 s14, 0, s11
	v_fmamk_f32 v1, v2, 0x4f800000, v1
	v_rcp_f32_e32 v1, v1
	s_nop 0
	v_mul_f32_e32 v1, 0x5f7ffffc, v1
	v_mul_f32_e32 v2, 0x2f800000, v1
	v_trunc_f32_e32 v2, v2
	v_fmamk_f32 v1, v2, 0xcf800000, v1
	v_cvt_u32_f32_e32 v2, v2
	v_cvt_u32_f32_e32 v1, v1
	v_readfirstlane_b32 s15, v2
	v_readfirstlane_b32 s12, v1
	s_mul_i32 s13, s3, s15
	s_mul_hi_u32 s25, s3, s12
	s_mul_i32 s24, s14, s12
	s_add_i32 s13, s25, s13
	s_add_i32 s13, s13, s24
	s_mul_i32 s26, s3, s12
	s_mul_i32 s25, s12, s13
	s_mul_hi_u32 s27, s12, s26
	s_mul_hi_u32 s24, s12, s13
	s_add_u32 s25, s27, s25
	s_addc_u32 s24, 0, s24
	s_mul_hi_u32 s28, s15, s26
	s_mul_i32 s26, s15, s26
	s_add_u32 s25, s25, s26
	s_mul_hi_u32 s27, s15, s13
	s_addc_u32 s24, s24, s28
	s_addc_u32 s25, s27, 0
	s_mul_i32 s13, s15, s13
	s_add_u32 s13, s24, s13
	s_addc_u32 s24, 0, s25
	s_add_u32 s25, s12, s13
	s_cselect_b64 s[12:13], -1, 0
	s_cmp_lg_u64 s[12:13], 0
	s_addc_u32 s15, s15, s24
	s_mul_i32 s12, s3, s15
	s_mul_hi_u32 s13, s3, s25
	s_add_i32 s12, s13, s12
	s_mul_i32 s14, s14, s25
	s_add_i32 s12, s12, s14
	s_mul_i32 s3, s3, s25
	s_mul_hi_u32 s14, s15, s3
	s_mul_i32 s24, s15, s3
	s_mul_i32 s27, s25, s12
	s_mul_hi_u32 s3, s25, s3
	s_mul_hi_u32 s26, s25, s12
	s_add_u32 s3, s3, s27
	s_addc_u32 s26, 0, s26
	s_add_u32 s3, s3, s24
	s_mul_hi_u32 s13, s15, s12
	s_addc_u32 s3, s26, s14
	s_addc_u32 s13, s13, 0
	s_mul_i32 s12, s15, s12
	s_add_u32 s3, s3, s12
	s_addc_u32 s14, 0, s13
	s_add_u32 s3, s25, s3
	s_cselect_b64 s[12:13], -1, 0
	s_cmp_lg_u64 s[12:13], 0
	s_addc_u32 s24, s15, s14
	s_ashr_i32 s12, s9, 31
	s_add_u32 s14, s8, s12
	s_mov_b32 s13, s12
	s_addc_u32 s15, s9, s12
	s_xor_b64 s[14:15], s[14:15], s[12:13]
	s_mul_i32 s26, s14, s24
	s_mul_hi_u32 s27, s14, s3
	s_mul_hi_u32 s25, s14, s24
	s_add_u32 s26, s27, s26
	s_addc_u32 s25, 0, s25
	s_mul_hi_u32 s28, s15, s3
	s_mul_i32 s3, s15, s3
	s_add_u32 s3, s26, s3
	s_mul_hi_u32 s27, s15, s24
	s_addc_u32 s3, s25, s28
	s_addc_u32 s25, s27, 0
	s_mul_i32 s24, s15, s24
	s_add_u32 s3, s3, s24
	s_addc_u32 s28, 0, s25
	s_mul_i32 s24, s10, s28
	s_mul_hi_u32 s25, s10, s3
	s_add_i32 s24, s25, s24
	s_mul_i32 s25, s11, s3
	s_add_i32 s29, s24, s25
	s_sub_i32 s26, s15, s29
	s_mul_i32 s24, s10, s3
	s_sub_u32 s14, s14, s24
	s_cselect_b64 s[24:25], -1, 0
	s_cmp_lg_u64 s[24:25], 0
	s_subb_u32 s30, s26, s11
	s_sub_u32 s31, s14, s10
	s_cselect_b64 s[26:27], -1, 0
	s_cmp_lg_u64 s[26:27], 0
	s_subb_u32 s26, s30, 0
	s_cmp_ge_u32 s26, s11
	s_cselect_b32 s27, -1, 0
	s_cmp_ge_u32 s31, s10
	s_cselect_b32 s30, -1, 0
	s_cmp_eq_u32 s26, s11
	s_cselect_b32 s26, s30, s27
	s_add_u32 s27, s3, 1
	s_addc_u32 s30, s28, 0
	s_add_u32 s31, s3, 2
	s_addc_u32 s33, s28, 0
	s_cmp_lg_u32 s26, 0
	s_cselect_b32 s26, s31, s27
	s_cselect_b32 s27, s33, s30
	s_cmp_lg_u64 s[24:25], 0
	s_subb_u32 s15, s15, s29
	s_cmp_ge_u32 s15, s11
	s_cselect_b32 s24, -1, 0
	s_cmp_ge_u32 s14, s10
	s_cselect_b32 s10, -1, 0
	s_cmp_eq_u32 s15, s11
	s_cselect_b32 s10, s10, s24
	s_cmp_lg_u32 s10, 0
	s_cselect_b32 s11, s27, s28
	s_cselect_b32 s10, s26, s3
	s_xor_b64 s[4:5], s[12:13], s[4:5]
	s_xor_b64 s[10:11], s[10:11], s[4:5]
	s_sub_u32 s10, s10, s4
	s_subb_u32 s11, s11, s5
	s_cbranch_execnz .LBB18_4
.LBB18_3:
	v_cvt_f32_u32_e32 v1, s38
	s_sub_i32 s3, 0, s38
	s_mov_b32 s11, 0
	v_rcp_iflag_f32_e32 v1, v1
	s_nop 0
	v_mul_f32_e32 v1, 0x4f7ffffe, v1
	v_cvt_u32_f32_e32 v1, v1
	s_nop 0
	v_readfirstlane_b32 s4, v1
	s_mul_i32 s3, s3, s4
	s_mul_hi_u32 s3, s4, s3
	s_add_i32 s4, s4, s3
	s_mul_hi_u32 s3, s8, s4
	s_mul_i32 s5, s3, s38
	s_sub_i32 s5, s8, s5
	s_add_i32 s4, s3, 1
	s_sub_i32 s6, s5, s38
	s_cmp_ge_u32 s5, s38
	s_cselect_b32 s3, s4, s3
	s_cselect_b32 s5, s6, s5
	s_add_i32 s4, s3, 1
	s_cmp_ge_u32 s5, s38
	s_cselect_b32 s10, s4, s3
.LBB18_4:
	s_mul_i32 s3, s10, s39
	s_mul_hi_u32 s14, s10, s38
	s_load_dwordx8 s[24:31], s[0:1], 0x28
	s_load_dwordx2 s[12:13], s[0:1], 0x48
	s_load_dwordx4 s[4:7], s[0:1], 0x60
	s_add_i32 s3, s14, s3
	s_mul_i32 s14, s11, s38
	s_add_i32 s3, s3, s14
	s_mul_i32 s14, s10, s38
	s_sub_u32 s14, s8, s14
	s_subb_u32 s15, s9, s3
	s_waitcnt lgkmcnt(0)
	s_mul_i32 s3, s31, s2
	s_mul_hi_u32 s8, s30, s2
	s_add_i32 s9, s8, s3
	s_mul_i32 s8, s30, s2
	s_lshl_b64 s[38:39], s[8:9], 1
	s_add_u32 s42, s16, s38
	s_mul_i32 s3, s13, s2
	s_mul_hi_u32 s8, s12, s2
	s_addc_u32 s43, s17, s39
	s_add_i32 s3, s8, s3
	s_mul_i32 s2, s12, s2
	s_lshl_b64 s[30:31], s[2:3], 1
	s_add_u32 s34, s18, s30
	s_mul_i32 s2, s10, s25
	s_mul_hi_u32 s3, s10, s24
	s_addc_u32 s35, s19, s31
	s_add_i32 s2, s3, s2
	s_mul_i32 s3, s11, s24
	s_add_i32 s66, s2, s3
	s_mul_i32 s67, s10, s24
	s_add_u32 s2, s20, s67
	s_mul_i32 s8, s14, s27
	s_mul_hi_u32 s9, s14, s26
	s_addc_u32 s3, s21, s66
	s_add_i32 s8, s9, s8
	s_mul_i32 s15, s15, s26
	s_add_i32 s68, s8, s15
	s_mul_i32 s69, s14, s26
	s_add_u32 s40, s2, s69
	s_addc_u32 s41, s3, s68
	s_add_u32 s2, s22, s67
	s_addc_u32 s3, s23, s66
	s_add_u32 s26, s2, s69
	s_load_dword s2, s[0:1], 0x7c
	s_load_dword s70, s[4:5], 0x0
	s_load_dword s33, s[6:7], 0x0
	s_addc_u32 s27, s3, s68
	s_ashr_i32 s1, s37, 31
	s_mov_b32 s0, s37
	s_waitcnt lgkmcnt(0)
	s_and_b32 s24, s2, 0xffff
	s_cmp_lg_u64 s[28:29], s[0:1]
	s_mov_b64 s[0:1], -1
	s_cbranch_scc0 .LBB18_39
; %bb.5:
	v_lshrrev_b32_e32 v1, 5, v0
	v_cmp_gt_i32_e32 vcc, s36, v1
	s_and_saveexec_b64 s[44:45], vcc
	s_cbranch_execz .LBB18_38
; %bb.6:
	s_lshr_b32 s25, s24, 5
	s_and_b32 s0, s37, 7
	s_cmp_eq_u32 s0, 0
	s_cselect_b64 s[2:3], -1, 0
	s_ashr_i32 s71, s37, 3
	s_add_u32 s4, s69, s67
	s_addc_u32 s5, s68, s66
	v_mov_b64_e32 v[2:3], s[4:5]
	v_mad_u64_u32 v[2:3], s[4:5], s28, v1, v[2:3]
	v_mov_b32_e32 v4, v3
	v_mad_u64_u32 v[4:5], s[4:5], s29, v1, v[4:5]
	s_mul_i32 s4, s29, s25
	s_mul_hi_u32 s5, s28, s25
	s_add_i32 s47, s5, s4
	s_add_u32 s48, s16, s38
	v_and_b32_e32 v6, 31, v0
	s_addc_u32 s49, s17, s39
	v_mov_b32_e32 v9, 0
	v_mov_b32_e32 v3, v4
	v_lshlrev_b32_e32 v8, 3, v6
	s_add_u32 s50, s18, s30
	v_lshl_add_u64 v[4:5], v[2:3], 0, v[8:9]
	v_lshlrev_b32_e32 v8, 4, v6
	s_addc_u32 s51, s19, s31
	v_cmp_gt_i32_e64 s[0:1], s71, v6
	v_mov_b32_e32 v7, v9
	v_lshl_add_u64 v[10:11], s[20:21], 0, v[4:5]
	s_mul_i32 s46, s28, s25
	v_lshl_add_u64 v[12:13], s[48:49], 0, v[8:9]
	v_mul_lo_u32 v14, s37, v1
	s_mul_i32 s72, s37, s25
	v_lshl_add_u64 v[16:17], s[20:21], 0, v[2:3]
	v_lshl_add_u64 v[18:19], s[22:23], 0, v[4:5]
	;; [unrolled: 1-line block ×4, first 2 shown]
	s_mov_b64 s[52:53], 0
	s_xor_b64 s[54:55], s[2:3], -1
	s_mov_b32 s73, 0x7f800000
	s_mov_b32 s74, 0x43e00000
	;; [unrolled: 1-line block ×3, first 2 shown]
	s_mov_b64 s[56:57], 0x100
	s_mov_b64 s[58:59], 0x200
	v_lshlrev_b32_e32 v24, 1, v6
	v_mov_b32_e32 v40, 0xc3e00000
	v_mov_b32_e32 v41, 8
	s_branch .LBB18_9
.LBB18_7:                               ;   in Loop: Header=BB18_9 Depth=1
	s_or_b64 exec, exec, s[62:63]
.LBB18_8:                               ;   in Loop: Header=BB18_9 Depth=1
	s_or_b64 exec, exec, s[60:61]
	v_add_u32_e32 v1, s25, v1
	v_cmp_le_i32_e32 vcc, s36, v1
	v_lshl_add_u64 v[10:11], v[10:11], 0, s[46:47]
	v_add_u32_e32 v14, s72, v14
	v_lshl_add_u64 v[16:17], v[16:17], 0, s[46:47]
	v_lshl_add_u64 v[18:19], v[18:19], 0, s[46:47]
	s_or_b64 s[52:53], vcc, s[52:53]
	v_lshl_add_u64 v[22:23], v[22:23], 0, s[46:47]
	s_andn2_b64 exec, exec, s[52:53]
	s_cbranch_execz .LBB18_38
.LBB18_9:                               ; =>This Loop Header: Depth=1
                                        ;     Child Loop BB18_14 Depth 2
                                        ;     Child Loop BB18_17 Depth 2
                                        ;     Child Loop BB18_22 Depth 2
                                        ;     Child Loop BB18_29 Depth 2
                                        ;     Child Loop BB18_32 Depth 2
                                        ;     Child Loop BB18_37 Depth 2
	v_mul_lo_u32 v30, v1, s37
	v_ashrrev_i32_e32 v31, 31, v30
	v_lshl_add_u64 v[2:3], v[30:31], 1, s[42:43]
	v_mad_u64_u32 v[28:29], s[2:3], s28, v1, 0
	v_mov_b32_e32 v4, v29
	v_and_b32_e32 v8, 15, v2
	v_ashrrev_i32_e32 v15, 31, v14
	v_mad_u64_u32 v[4:5], s[2:3], s29, v1, v[4:5]
	v_cmp_ne_u64_e32 vcc, 0, v[8:9]
	v_lshlrev_b64 v[26:27], 1, v[14:15]
	v_mov_b32_e32 v29, v4
	s_or_b64 s[2:3], s[54:55], vcc
	s_and_saveexec_b64 s[4:5], s[2:3]
	s_xor_b64 s[60:61], exec, s[4:5]
	s_cbranch_execz .LBB18_19
; %bb.10:                               ;   in Loop: Header=BB18_9 Depth=1
	v_sub_u32_e32 v4, 0, v2
	v_bfe_u32 v4, v4, 1, 3
	v_min_i32_e32 v32, s37, v4
	v_cmp_lt_i32_e32 vcc, v6, v32
	s_and_saveexec_b64 s[2:3], vcc
	s_cbranch_execz .LBB18_12
; %bb.11:                               ;   in Loop: Header=BB18_9 Depth=1
	v_mov_b32_e32 v25, v9
	v_lshl_add_u64 v[2:3], v[2:3], 0, v[24:25]
	global_load_ushort v2, v[2:3], off
	s_waitcnt vmcnt(0)
	v_cvt_f32_f16_e32 v2, v2
	v_div_scale_f32 v3, s[4:5], s70, s70, v2
	v_rcp_f32_e32 v4, v3
	v_div_scale_f32 v5, vcc, v2, s70, v2
	v_fma_f32 v8, -v3, v4, 1.0
	v_fmac_f32_e32 v4, v8, v4
	v_mul_f32_e32 v8, v5, v4
	v_fma_f32 v15, -v3, v8, v5
	v_fmac_f32_e32 v8, v15, v4
	v_fma_f32 v3, -v3, v8, v5
	v_div_fmas_f32 v3, v3, v4, v8
	v_div_fixup_f32 v2, v3, s70, v2
	v_cvt_f16_f32_e32 v2, v2
	v_mov_b32_e32 v4, v9
	v_cvt_f32_f16_e32 v2, v2
	v_med3_f32 v3, v2, s74, v40
	v_cmp_nlg_f32_e64 vcc, |v2|, s73
	s_nop 1
	v_cndmask_b32_e32 v2, v3, v2, vcc
	v_cvt_pk_fp8_f32 v4, v2, v2
	v_lshl_add_u64 v[2:3], s[40:41], 0, v[28:29]
	v_lshl_add_u64 v[2:3], v[2:3], 0, v[6:7]
	global_store_byte v[2:3], v4, off
.LBB18_12:                              ;   in Loop: Header=BB18_9 Depth=1
	s_or_b64 exec, exec, s[2:3]
	v_sub_u32_e32 v8, s37, v32
	v_ashrrev_i32_e32 v2, 31, v8
	v_lshrrev_b32_e32 v2, 29, v2
	v_add_u32_e32 v2, v8, v2
	v_ashrrev_i32_e32 v33, 31, v32
	v_ashrrev_i32_e32 v15, 3, v2
	v_cmp_lt_i32_e32 vcc, v6, v15
	v_lshl_add_u64 v[34:35], v[32:33], 1, v[26:27]
	s_and_saveexec_b64 s[62:63], vcc
	s_cbranch_execz .LBB18_15
; %bb.13:                               ;   in Loop: Header=BB18_9 Depth=1
	v_lshl_add_u64 v[36:37], v[10:11], 0, v[32:33]
	v_lshl_add_u64 v[38:39], v[12:13], 0, v[34:35]
	s_mov_b64 s[64:65], 0
	v_mov_b32_e32 v25, v6
.LBB18_14:                              ;   Parent Loop BB18_9 Depth=1
                                        ; =>  This Inner Loop Header: Depth=2
	global_load_dwordx4 v[2:5], v[38:39], off
	v_add_u32_e32 v25, 32, v25
	v_cmp_ge_i32_e32 vcc, v25, v15
	s_or_b64 s[64:65], vcc, s[64:65]
	v_mov_b32_e32 v42, 0
	v_mov_b32_e32 v43, 0
	;; [unrolled: 1-line block ×8, first 2 shown]
	v_lshl_add_u64 v[38:39], v[38:39], 0, s[58:59]
	s_waitcnt vmcnt(0)
	v_cvt_f32_f16_e32 v50, v2
	v_cvt_f32_f16_sdwa v2, v2 dst_sel:DWORD dst_unused:UNUSED_PAD src0_sel:WORD_1
	v_cvt_f32_f16_e32 v51, v3
	v_cvt_f32_f16_sdwa v3, v3 dst_sel:DWORD dst_unused:UNUSED_PAD src0_sel:WORD_1
	v_cvt_f32_f16_e32 v52, v4
	v_div_scale_f32 v54, s[2:3], s70, s70, v50
	v_cvt_f32_f16_sdwa v4, v4 dst_sel:DWORD dst_unused:UNUSED_PAD src0_sel:WORD_1
	v_div_scale_f32 v56, s[2:3], s70, s70, v2
	v_rcp_f32_e32 v70, v54
	v_cvt_f32_f16_e32 v53, v5
	v_div_scale_f32 v58, s[4:5], s70, s70, v51
	v_rcp_f32_e32 v71, v56
	v_cvt_f32_f16_sdwa v5, v5 dst_sel:DWORD dst_unused:UNUSED_PAD src0_sel:WORD_1
	v_div_scale_f32 v60, s[6:7], s70, s70, v3
	v_rcp_f32_e32 v72, v58
	v_div_scale_f32 v62, s[8:9], s70, s70, v52
	v_rcp_f32_e32 v73, v60
	;; [unrolled: 2-line block ×3, first 2 shown]
	v_fma_f32 v78, -v54, v70, 1.0
	v_div_scale_f32 v55, vcc, v50, s70, v50
	v_div_scale_f32 v66, s[12:13], s70, s70, v53
	v_rcp_f32_e32 v75, v64
	v_fma_f32 v79, -v56, v71, 1.0
	v_fmac_f32_e32 v70, v78, v70
	v_div_scale_f32 v57, s[2:3], v2, s70, v2
	v_div_scale_f32 v68, s[14:15], s70, s70, v5
	v_rcp_f32_e32 v76, v66
	v_fma_f32 v80, -v58, v72, 1.0
	v_fmac_f32_e32 v71, v79, v71
	v_mul_f32_e32 v78, v55, v70
	v_div_scale_f32 v59, s[4:5], v51, s70, v51
	v_rcp_f32_e32 v77, v68
	v_fma_f32 v81, -v60, v73, 1.0
	v_fmac_f32_e32 v72, v80, v72
	v_mul_f32_e32 v79, v57, v71
	v_fma_f32 v86, -v54, v78, v55
	v_div_scale_f32 v61, s[6:7], v3, s70, v3
	v_fma_f32 v82, -v62, v74, 1.0
	v_fmac_f32_e32 v73, v81, v73
	v_mul_f32_e32 v80, v59, v72
	v_fma_f32 v87, -v56, v79, v57
	v_fmac_f32_e32 v78, v86, v70
	v_div_scale_f32 v63, s[8:9], v52, s70, v52
	v_fma_f32 v83, -v64, v75, 1.0
	v_fmac_f32_e32 v74, v82, v74
	v_mul_f32_e32 v81, v61, v73
	v_fma_f32 v88, -v58, v80, v59
	v_fmac_f32_e32 v79, v87, v71
	v_fma_f32 v54, -v54, v78, v55
	v_div_scale_f32 v65, s[10:11], v4, s70, v4
	v_fma_f32 v84, -v66, v76, 1.0
	v_fmac_f32_e32 v75, v83, v75
	v_mul_f32_e32 v82, v63, v74
	v_fma_f32 v89, -v60, v81, v61
	v_fmac_f32_e32 v80, v88, v72
	v_fma_f32 v55, -v56, v79, v57
	v_div_fmas_f32 v54, v54, v70, v78
	s_mov_b64 vcc, s[2:3]
	v_div_scale_f32 v67, s[12:13], v53, s70, v53
	v_fma_f32 v85, -v68, v77, 1.0
	v_fmac_f32_e32 v76, v84, v76
	v_mul_f32_e32 v83, v65, v75
	v_fma_f32 v90, -v62, v82, v63
	v_fmac_f32_e32 v81, v89, v73
	v_fma_f32 v56, -v58, v80, v59
	v_div_fixup_f32 v50, v54, s70, v50
	v_div_fmas_f32 v54, v55, v71, v79
	s_mov_b64 vcc, s[4:5]
	v_div_scale_f32 v69, s[14:15], v5, s70, v5
	v_fmac_f32_e32 v77, v85, v77
	v_mul_f32_e32 v84, v67, v76
	v_fma_f32 v91, -v64, v83, v65
	v_fmac_f32_e32 v82, v90, v74
	v_fma_f32 v57, -v60, v81, v61
	v_cvt_f16_f32_e32 v50, v50
	v_div_fixup_f32 v2, v54, s70, v2
	v_div_fmas_f32 v54, v56, v72, v80
	s_mov_b64 vcc, s[6:7]
	v_mul_f32_e32 v85, v69, v77
	v_fma_f32 v92, -v66, v84, v67
	v_fmac_f32_e32 v83, v91, v75
	v_fma_f32 v58, -v62, v82, v63
	v_cvt_f16_f32_e32 v2, v2
	v_div_fixup_f32 v51, v54, s70, v51
	v_div_fmas_f32 v54, v57, v73, v81
	s_mov_b64 vcc, s[8:9]
	v_fma_f32 v93, -v68, v85, v69
	v_fmac_f32_e32 v84, v92, v76
	v_fma_f32 v59, -v64, v83, v65
	v_cvt_f16_f32_e32 v51, v51
	v_div_fixup_f32 v3, v54, s70, v3
	v_div_fmas_f32 v54, v58, v74, v82
	s_mov_b64 vcc, s[10:11]
	v_fmac_f32_e32 v85, v93, v77
	v_fma_f32 v60, -v66, v84, v67
	v_cvt_f16_f32_e32 v3, v3
	v_div_fixup_f32 v52, v54, s70, v52
	v_div_fmas_f32 v54, v59, v75, v83
	s_mov_b64 vcc, s[12:13]
	v_fma_f32 v61, -v68, v85, v69
	v_cvt_f32_f16_e32 v50, v50
	v_cvt_f16_f32_e32 v52, v52
	v_div_fixup_f32 v4, v54, s70, v4
	v_div_fmas_f32 v54, v60, v76, v84
	s_mov_b64 vcc, s[14:15]
	v_cvt_f32_f16_e32 v2, v2
	v_cvt_f16_f32_e32 v4, v4
	v_div_fixup_f32 v53, v54, s70, v53
	v_div_fmas_f32 v54, v61, v77, v85
	v_cvt_f32_f16_e32 v51, v51
	v_cvt_f16_f32_e32 v53, v53
	v_div_fixup_f32 v5, v54, s70, v5
	v_cvt_f32_f16_e32 v3, v3
	v_cvt_f16_f32_e32 v5, v5
	v_med3_f32 v54, v50, s74, v40
	v_cvt_f32_f16_e32 v52, v52
	v_cmp_nlg_f32_e64 vcc, |v50|, s73
	v_cvt_f32_f16_e32 v4, v4
	v_cvt_f32_f16_e32 v53, v53
	v_cndmask_b32_e32 v50, v54, v50, vcc
	v_med3_f32 v54, v2, s74, v40
	v_cmp_nlg_f32_e64 vcc, |v2|, s73
	v_cvt_pk_fp8_f32 v42, v50, v50
	v_med3_f32 v50, v51, s74, v40
	v_cndmask_b32_e32 v2, v54, v2, vcc
	v_cmp_nlg_f32_e64 vcc, |v51|, s73
	v_cvt_pk_fp8_f32 v43, v2, v2
	v_cvt_f32_f16_e32 v5, v5
	v_cndmask_b32_e32 v2, v50, v51, vcc
	v_med3_f32 v50, v3, s74, v40
	v_cmp_nlg_f32_e64 vcc, |v3|, s73
	v_cvt_pk_fp8_f32 v44, v2, v2
	s_nop 0
	v_cndmask_b32_e32 v2, v50, v3, vcc
	v_med3_f32 v3, v52, s74, v40
	v_cmp_nlg_f32_e64 vcc, |v52|, s73
	v_cvt_pk_fp8_f32 v45, v2, v2
	s_nop 0
	v_cndmask_b32_e32 v2, v3, v52, vcc
	v_med3_f32 v3, v4, s74, v40
	v_cmp_nlg_f32_e64 vcc, |v4|, s73
	v_cvt_pk_fp8_f32 v46, v2, v2
	s_nop 0
	v_cndmask_b32_e32 v2, v3, v4, vcc
	v_med3_f32 v3, v53, s74, v40
	v_cmp_nlg_f32_e64 vcc, |v53|, s73
	v_cvt_pk_fp8_f32 v47, v2, v2
	v_and_b32_e32 v4, 0xff, v42
	v_cndmask_b32_e32 v2, v3, v53, vcc
	v_med3_f32 v3, v5, s74, v40
	v_cmp_nlg_f32_e64 vcc, |v5|, s73
	v_cvt_pk_fp8_f32 v48, v2, v2
	v_lshlrev_b32_e32 v42, 8, v43
	v_cndmask_b32_e32 v2, v3, v5, vcc
	v_cvt_pk_fp8_f32 v49, v2, v2
	v_lshlrev_b32_e32 v3, 16, v44
	v_and_b32_e32 v5, 0xff00, v42
	v_perm_b32 v2, v45, v3, s75
	v_or3_b32 v2, v2, v5, v4
	v_and_b32_e32 v5, 0xff, v48
	v_lshlrev_b32_e32 v42, 24, v49
	v_lshlrev_b32_e32 v5, 16, v5
	v_and_b32_e32 v3, 0xff, v46
	v_lshlrev_b32_sdwa v4, v41, v47 dst_sel:DWORD dst_unused:UNUSED_PAD src0_sel:DWORD src1_sel:BYTE_0
	v_or_b32_e32 v5, v42, v5
	v_or3_b32 v3, v5, v4, v3
	global_store_dwordx2 v[36:37], v[2:3], off
	v_lshl_add_u64 v[36:37], v[36:37], 0, s[56:57]
	s_andn2_b64 exec, exec, s[64:65]
	s_cbranch_execnz .LBB18_14
.LBB18_15:                              ;   in Loop: Header=BB18_9 Depth=1
	s_or_b64 exec, exec, s[62:63]
	v_lshl_add_u32 v2, v15, 3, v6
	v_cmp_lt_i32_e32 vcc, v2, v8
	s_and_saveexec_b64 s[2:3], vcc
	s_cbranch_execz .LBB18_18
; %bb.16:                               ;   in Loop: Header=BB18_9 Depth=1
	v_ashrrev_i32_e32 v3, 31, v2
	v_lshl_add_u64 v[4:5], v[2:3], 1, v[34:35]
	v_lshl_add_u64 v[32:33], v[32:33], 0, v[2:3]
	;; [unrolled: 1-line block ×4, first 2 shown]
	s_mov_b64 s[4:5], 0
.LBB18_17:                              ;   Parent Loop BB18_9 Depth=1
                                        ; =>  This Inner Loop Header: Depth=2
	global_load_ushort v3, v[4:5], off
	v_mov_b32_e32 v15, 0
	v_add_u32_e32 v2, 32, v2
	v_lshl_add_u64 v[4:5], v[4:5], 0, 64
	s_waitcnt vmcnt(0)
	v_cvt_f32_f16_e32 v3, v3
	v_div_scale_f32 v25, s[6:7], s70, s70, v3
	v_rcp_f32_e32 v35, v25
	v_div_scale_f32 v34, vcc, v3, s70, v3
	v_fma_f32 v36, -v25, v35, 1.0
	v_fmac_f32_e32 v35, v36, v35
	v_mul_f32_e32 v36, v34, v35
	v_fma_f32 v37, -v25, v36, v34
	v_fmac_f32_e32 v36, v37, v35
	v_fma_f32 v25, -v25, v36, v34
	v_div_fmas_f32 v25, v25, v35, v36
	v_div_fixup_f32 v3, v25, s70, v3
	v_cvt_f16_f32_e32 v3, v3
	v_cvt_f32_f16_e32 v3, v3
	v_med3_f32 v25, v3, s74, v40
	v_cmp_nlg_f32_e64 vcc, |v3|, s73
	s_nop 1
	v_cndmask_b32_e32 v3, v25, v3, vcc
	v_cvt_pk_fp8_f32 v15, v3, v3
	v_cmp_ge_i32_e32 vcc, v2, v8
	s_or_b64 s[4:5], vcc, s[4:5]
	global_store_byte v[32:33], v15, off
	v_lshl_add_u64 v[32:33], v[32:33], 0, 32
	s_andn2_b64 exec, exec, s[4:5]
	s_cbranch_execnz .LBB18_17
.LBB18_18:                              ;   in Loop: Header=BB18_9 Depth=1
	s_or_b64 exec, exec, s[2:3]
.LBB18_19:                              ;   in Loop: Header=BB18_9 Depth=1
	s_andn2_saveexec_b64 s[60:61], s[60:61]
	s_cbranch_execz .LBB18_24
; %bb.20:                               ;   in Loop: Header=BB18_9 Depth=1
	s_and_saveexec_b64 s[62:63], s[0:1]
	s_cbranch_execz .LBB18_23
; %bb.21:                               ;   in Loop: Header=BB18_9 Depth=1
	v_lshl_add_u64 v[32:33], v[12:13], 0, v[26:27]
	s_mov_b64 s[64:65], 0
	v_mov_b64_e32 v[34:35], v[10:11]
	v_mov_b32_e32 v8, v6
.LBB18_22:                              ;   Parent Loop BB18_9 Depth=1
                                        ; =>  This Inner Loop Header: Depth=2
	global_load_dwordx4 v[2:5], v[32:33], off
	v_add_u32_e32 v8, 32, v8
	v_cmp_le_i32_e32 vcc, s71, v8
	s_or_b64 s[64:65], vcc, s[64:65]
	v_mov_b32_e32 v15, 0
	v_mov_b32_e32 v25, 0
	;; [unrolled: 1-line block ×8, first 2 shown]
	v_lshl_add_u64 v[32:33], v[32:33], 0, s[58:59]
	s_waitcnt vmcnt(0)
	v_cvt_f32_f16_e32 v44, v2
	v_cvt_f32_f16_sdwa v2, v2 dst_sel:DWORD dst_unused:UNUSED_PAD src0_sel:WORD_1
	v_cvt_f32_f16_e32 v45, v3
	v_cvt_f32_f16_sdwa v3, v3 dst_sel:DWORD dst_unused:UNUSED_PAD src0_sel:WORD_1
	v_cvt_f32_f16_e32 v46, v4
	v_div_scale_f32 v48, s[2:3], s70, s70, v44
	v_cvt_f32_f16_sdwa v4, v4 dst_sel:DWORD dst_unused:UNUSED_PAD src0_sel:WORD_1
	v_div_scale_f32 v50, s[2:3], s70, s70, v2
	v_rcp_f32_e32 v64, v48
	v_cvt_f32_f16_e32 v47, v5
	v_div_scale_f32 v52, s[4:5], s70, s70, v45
	v_rcp_f32_e32 v65, v50
	v_cvt_f32_f16_sdwa v5, v5 dst_sel:DWORD dst_unused:UNUSED_PAD src0_sel:WORD_1
	v_div_scale_f32 v54, s[6:7], s70, s70, v3
	v_rcp_f32_e32 v66, v52
	v_div_scale_f32 v56, s[8:9], s70, s70, v46
	v_rcp_f32_e32 v67, v54
	;; [unrolled: 2-line block ×3, first 2 shown]
	v_fma_f32 v72, -v48, v64, 1.0
	v_div_scale_f32 v49, vcc, v44, s70, v44
	v_div_scale_f32 v60, s[12:13], s70, s70, v47
	v_rcp_f32_e32 v69, v58
	v_fma_f32 v73, -v50, v65, 1.0
	v_fmac_f32_e32 v64, v72, v64
	v_div_scale_f32 v51, s[2:3], v2, s70, v2
	v_div_scale_f32 v62, s[14:15], s70, s70, v5
	v_rcp_f32_e32 v70, v60
	v_fma_f32 v74, -v52, v66, 1.0
	v_fmac_f32_e32 v65, v73, v65
	v_mul_f32_e32 v72, v49, v64
	v_div_scale_f32 v53, s[4:5], v45, s70, v45
	v_rcp_f32_e32 v71, v62
	v_fma_f32 v75, -v54, v67, 1.0
	v_fmac_f32_e32 v66, v74, v66
	v_mul_f32_e32 v73, v51, v65
	v_fma_f32 v80, -v48, v72, v49
	v_div_scale_f32 v55, s[6:7], v3, s70, v3
	v_fma_f32 v76, -v56, v68, 1.0
	v_fmac_f32_e32 v67, v75, v67
	v_mul_f32_e32 v74, v53, v66
	v_fma_f32 v81, -v50, v73, v51
	v_fmac_f32_e32 v72, v80, v64
	v_div_scale_f32 v57, s[8:9], v46, s70, v46
	v_fma_f32 v77, -v58, v69, 1.0
	v_fmac_f32_e32 v68, v76, v68
	v_mul_f32_e32 v75, v55, v67
	v_fma_f32 v82, -v52, v74, v53
	v_fmac_f32_e32 v73, v81, v65
	v_fma_f32 v48, -v48, v72, v49
	v_div_scale_f32 v59, s[10:11], v4, s70, v4
	v_fma_f32 v78, -v60, v70, 1.0
	v_fmac_f32_e32 v69, v77, v69
	v_mul_f32_e32 v76, v57, v68
	v_fma_f32 v83, -v54, v75, v55
	v_fmac_f32_e32 v74, v82, v66
	v_fma_f32 v49, -v50, v73, v51
	v_div_fmas_f32 v48, v48, v64, v72
	s_mov_b64 vcc, s[2:3]
	v_div_scale_f32 v61, s[12:13], v47, s70, v47
	v_fma_f32 v79, -v62, v71, 1.0
	v_fmac_f32_e32 v70, v78, v70
	v_mul_f32_e32 v77, v59, v69
	v_fma_f32 v84, -v56, v76, v57
	v_fmac_f32_e32 v75, v83, v67
	v_fma_f32 v50, -v52, v74, v53
	v_div_fixup_f32 v44, v48, s70, v44
	v_div_fmas_f32 v48, v49, v65, v73
	s_mov_b64 vcc, s[4:5]
	v_div_scale_f32 v63, s[14:15], v5, s70, v5
	v_fmac_f32_e32 v71, v79, v71
	v_mul_f32_e32 v78, v61, v70
	v_fma_f32 v85, -v58, v77, v59
	v_fmac_f32_e32 v76, v84, v68
	v_fma_f32 v51, -v54, v75, v55
	v_cvt_f16_f32_e32 v44, v44
	v_div_fixup_f32 v2, v48, s70, v2
	v_div_fmas_f32 v48, v50, v66, v74
	s_mov_b64 vcc, s[6:7]
	v_mul_f32_e32 v79, v63, v71
	v_fma_f32 v86, -v60, v78, v61
	v_fmac_f32_e32 v77, v85, v69
	v_fma_f32 v52, -v56, v76, v57
	v_cvt_f16_f32_e32 v2, v2
	v_div_fixup_f32 v45, v48, s70, v45
	v_div_fmas_f32 v48, v51, v67, v75
	s_mov_b64 vcc, s[8:9]
	v_fma_f32 v87, -v62, v79, v63
	v_fmac_f32_e32 v78, v86, v70
	v_fma_f32 v53, -v58, v77, v59
	v_cvt_f16_f32_e32 v45, v45
	v_div_fixup_f32 v3, v48, s70, v3
	v_div_fmas_f32 v48, v52, v68, v76
	s_mov_b64 vcc, s[10:11]
	v_fmac_f32_e32 v79, v87, v71
	v_fma_f32 v54, -v60, v78, v61
	v_cvt_f16_f32_e32 v3, v3
	v_div_fixup_f32 v46, v48, s70, v46
	v_div_fmas_f32 v48, v53, v69, v77
	s_mov_b64 vcc, s[12:13]
	v_fma_f32 v55, -v62, v79, v63
	v_cvt_f32_f16_e32 v44, v44
	v_cvt_f16_f32_e32 v46, v46
	v_div_fixup_f32 v4, v48, s70, v4
	v_div_fmas_f32 v48, v54, v70, v78
	s_mov_b64 vcc, s[14:15]
	v_cvt_f32_f16_e32 v2, v2
	v_cvt_f16_f32_e32 v4, v4
	v_div_fixup_f32 v47, v48, s70, v47
	v_div_fmas_f32 v48, v55, v71, v79
	v_cvt_f32_f16_e32 v45, v45
	v_cvt_f16_f32_e32 v47, v47
	v_div_fixup_f32 v5, v48, s70, v5
	v_cvt_f32_f16_e32 v3, v3
	v_cvt_f16_f32_e32 v5, v5
	v_med3_f32 v48, v44, s74, v40
	v_cvt_f32_f16_e32 v46, v46
	v_cmp_nlg_f32_e64 vcc, |v44|, s73
	v_cvt_f32_f16_e32 v4, v4
	v_cvt_f32_f16_e32 v47, v47
	v_cndmask_b32_e32 v44, v48, v44, vcc
	v_med3_f32 v48, v2, s74, v40
	v_cmp_nlg_f32_e64 vcc, |v2|, s73
	v_cvt_pk_fp8_f32 v15, v44, v44
	v_med3_f32 v44, v45, s74, v40
	v_cndmask_b32_e32 v2, v48, v2, vcc
	v_cmp_nlg_f32_e64 vcc, |v45|, s73
	v_cvt_pk_fp8_f32 v25, v2, v2
	v_cvt_f32_f16_e32 v5, v5
	v_cndmask_b32_e32 v2, v44, v45, vcc
	v_med3_f32 v44, v3, s74, v40
	v_cmp_nlg_f32_e64 vcc, |v3|, s73
	v_cvt_pk_fp8_f32 v36, v2, v2
	s_nop 0
	v_cndmask_b32_e32 v2, v44, v3, vcc
	v_med3_f32 v3, v46, s74, v40
	v_cmp_nlg_f32_e64 vcc, |v46|, s73
	v_cvt_pk_fp8_f32 v37, v2, v2
	s_nop 0
	v_cndmask_b32_e32 v2, v3, v46, vcc
	v_med3_f32 v3, v4, s74, v40
	v_cmp_nlg_f32_e64 vcc, |v4|, s73
	v_cvt_pk_fp8_f32 v38, v2, v2
	s_nop 0
	v_cndmask_b32_e32 v2, v3, v4, vcc
	v_med3_f32 v3, v47, s74, v40
	v_cmp_nlg_f32_e64 vcc, |v47|, s73
	v_cvt_pk_fp8_f32 v39, v2, v2
	v_and_b32_e32 v4, 0xff, v15
	v_cndmask_b32_e32 v2, v3, v47, vcc
	v_med3_f32 v3, v5, s74, v40
	v_cmp_nlg_f32_e64 vcc, |v5|, s73
	v_cvt_pk_fp8_f32 v42, v2, v2
	v_lshlrev_b32_e32 v15, 8, v25
	v_cndmask_b32_e32 v2, v3, v5, vcc
	v_cvt_pk_fp8_f32 v43, v2, v2
	v_lshlrev_b32_e32 v3, 16, v36
	v_and_b32_e32 v5, 0xff00, v15
	v_perm_b32 v2, v37, v3, s75
	v_or3_b32 v2, v2, v5, v4
	v_and_b32_e32 v5, 0xff, v42
	v_lshlrev_b32_e32 v15, 24, v43
	v_lshlrev_b32_e32 v5, 16, v5
	v_and_b32_e32 v3, 0xff, v38
	v_lshlrev_b32_sdwa v4, v41, v39 dst_sel:DWORD dst_unused:UNUSED_PAD src0_sel:DWORD src1_sel:BYTE_0
	v_or_b32_e32 v5, v15, v5
	v_or3_b32 v3, v5, v4, v3
	global_store_dwordx2 v[34:35], v[2:3], off
	v_lshl_add_u64 v[34:35], v[34:35], 0, s[56:57]
	s_andn2_b64 exec, exec, s[64:65]
	s_cbranch_execnz .LBB18_22
.LBB18_23:                              ;   in Loop: Header=BB18_9 Depth=1
	s_or_b64 exec, exec, s[62:63]
.LBB18_24:                              ;   in Loop: Header=BB18_9 Depth=1
	s_or_b64 exec, exec, s[60:61]
	v_lshl_add_u64 v[2:3], v[30:31], 1, s[34:35]
	v_and_b32_e32 v8, 15, v2
	v_cmp_ne_u64_e32 vcc, 0, v[8:9]
	s_or_b64 s[2:3], s[54:55], vcc
	s_and_saveexec_b64 s[4:5], s[2:3]
	s_xor_b64 s[60:61], exec, s[4:5]
	s_cbranch_execz .LBB18_34
; %bb.25:                               ;   in Loop: Header=BB18_9 Depth=1
	v_sub_u32_e32 v4, 0, v2
	v_bfe_u32 v4, v4, 1, 3
	v_min_i32_e32 v30, s37, v4
	v_cmp_lt_i32_e32 vcc, v6, v30
	s_and_saveexec_b64 s[2:3], vcc
	s_cbranch_execz .LBB18_27
; %bb.26:                               ;   in Loop: Header=BB18_9 Depth=1
	v_mov_b32_e32 v25, v9
	v_lshl_add_u64 v[2:3], v[2:3], 0, v[24:25]
	global_load_ushort v2, v[2:3], off
	s_waitcnt vmcnt(0)
	v_cvt_f32_f16_e32 v2, v2
	v_div_scale_f32 v3, s[4:5], s33, s33, v2
	v_rcp_f32_e32 v4, v3
	v_div_scale_f32 v5, vcc, v2, s33, v2
	v_fma_f32 v8, -v3, v4, 1.0
	v_fmac_f32_e32 v4, v8, v4
	v_mul_f32_e32 v8, v5, v4
	v_fma_f32 v15, -v3, v8, v5
	v_fmac_f32_e32 v8, v15, v4
	v_fma_f32 v3, -v3, v8, v5
	v_div_fmas_f32 v3, v3, v4, v8
	v_div_fixup_f32 v2, v3, s33, v2
	v_cvt_f16_f32_e32 v2, v2
	v_mov_b32_e32 v4, v9
	v_cvt_f32_f16_e32 v2, v2
	v_med3_f32 v3, v2, s74, v40
	v_cmp_nlg_f32_e64 vcc, |v2|, s73
	s_nop 1
	v_cndmask_b32_e32 v2, v3, v2, vcc
	v_cvt_pk_fp8_f32 v4, v2, v2
	v_lshl_add_u64 v[2:3], s[26:27], 0, v[28:29]
	v_lshl_add_u64 v[2:3], v[2:3], 0, v[6:7]
	global_store_byte v[2:3], v4, off
.LBB18_27:                              ;   in Loop: Header=BB18_9 Depth=1
	s_or_b64 exec, exec, s[2:3]
	v_sub_u32_e32 v8, s37, v30
	v_ashrrev_i32_e32 v2, 31, v8
	v_lshrrev_b32_e32 v2, 29, v2
	v_add_u32_e32 v2, v8, v2
	v_ashrrev_i32_e32 v31, 31, v30
	v_ashrrev_i32_e32 v15, 3, v2
	v_cmp_lt_i32_e32 vcc, v6, v15
	v_lshl_add_u64 v[26:27], v[30:31], 1, v[26:27]
	s_and_saveexec_b64 s[62:63], vcc
	s_cbranch_execz .LBB18_30
; %bb.28:                               ;   in Loop: Header=BB18_9 Depth=1
	v_lshl_add_u64 v[28:29], v[18:19], 0, v[30:31]
	v_lshl_add_u64 v[32:33], v[20:21], 0, v[26:27]
	s_mov_b64 s[64:65], 0
	v_mov_b32_e32 v25, v6
.LBB18_29:                              ;   Parent Loop BB18_9 Depth=1
                                        ; =>  This Inner Loop Header: Depth=2
	global_load_dwordx4 v[2:5], v[32:33], off
	v_add_u32_e32 v25, 32, v25
	v_cmp_ge_i32_e32 vcc, v25, v15
	s_or_b64 s[64:65], vcc, s[64:65]
	v_mov_b32_e32 v34, 0
	v_mov_b32_e32 v35, 0
	;; [unrolled: 1-line block ×8, first 2 shown]
	v_lshl_add_u64 v[32:33], v[32:33], 0, s[58:59]
	s_waitcnt vmcnt(0)
	v_cvt_f32_f16_e32 v44, v2
	v_cvt_f32_f16_sdwa v2, v2 dst_sel:DWORD dst_unused:UNUSED_PAD src0_sel:WORD_1
	v_cvt_f32_f16_e32 v45, v3
	v_cvt_f32_f16_sdwa v3, v3 dst_sel:DWORD dst_unused:UNUSED_PAD src0_sel:WORD_1
	v_cvt_f32_f16_e32 v46, v4
	v_div_scale_f32 v48, s[2:3], s33, s33, v44
	v_cvt_f32_f16_sdwa v4, v4 dst_sel:DWORD dst_unused:UNUSED_PAD src0_sel:WORD_1
	v_div_scale_f32 v50, s[2:3], s33, s33, v2
	v_rcp_f32_e32 v64, v48
	v_cvt_f32_f16_e32 v47, v5
	v_div_scale_f32 v52, s[4:5], s33, s33, v45
	v_rcp_f32_e32 v65, v50
	v_cvt_f32_f16_sdwa v5, v5 dst_sel:DWORD dst_unused:UNUSED_PAD src0_sel:WORD_1
	v_div_scale_f32 v54, s[6:7], s33, s33, v3
	v_rcp_f32_e32 v66, v52
	v_div_scale_f32 v56, s[8:9], s33, s33, v46
	v_rcp_f32_e32 v67, v54
	;; [unrolled: 2-line block ×3, first 2 shown]
	v_fma_f32 v72, -v48, v64, 1.0
	v_div_scale_f32 v49, vcc, v44, s33, v44
	v_div_scale_f32 v60, s[12:13], s33, s33, v47
	v_rcp_f32_e32 v69, v58
	v_fma_f32 v73, -v50, v65, 1.0
	v_fmac_f32_e32 v64, v72, v64
	v_div_scale_f32 v51, s[2:3], v2, s33, v2
	v_div_scale_f32 v62, s[14:15], s33, s33, v5
	v_rcp_f32_e32 v70, v60
	v_fma_f32 v74, -v52, v66, 1.0
	v_fmac_f32_e32 v65, v73, v65
	v_mul_f32_e32 v72, v49, v64
	v_div_scale_f32 v53, s[4:5], v45, s33, v45
	v_rcp_f32_e32 v71, v62
	v_fma_f32 v75, -v54, v67, 1.0
	v_fmac_f32_e32 v66, v74, v66
	v_mul_f32_e32 v73, v51, v65
	v_fma_f32 v80, -v48, v72, v49
	v_div_scale_f32 v55, s[6:7], v3, s33, v3
	v_fma_f32 v76, -v56, v68, 1.0
	v_fmac_f32_e32 v67, v75, v67
	v_mul_f32_e32 v74, v53, v66
	v_fma_f32 v81, -v50, v73, v51
	v_fmac_f32_e32 v72, v80, v64
	v_div_scale_f32 v57, s[8:9], v46, s33, v46
	v_fma_f32 v77, -v58, v69, 1.0
	v_fmac_f32_e32 v68, v76, v68
	v_mul_f32_e32 v75, v55, v67
	v_fma_f32 v82, -v52, v74, v53
	v_fmac_f32_e32 v73, v81, v65
	v_fma_f32 v48, -v48, v72, v49
	v_div_scale_f32 v59, s[10:11], v4, s33, v4
	v_fma_f32 v78, -v60, v70, 1.0
	v_fmac_f32_e32 v69, v77, v69
	v_mul_f32_e32 v76, v57, v68
	v_fma_f32 v83, -v54, v75, v55
	v_fmac_f32_e32 v74, v82, v66
	v_fma_f32 v49, -v50, v73, v51
	v_div_fmas_f32 v48, v48, v64, v72
	s_mov_b64 vcc, s[2:3]
	v_div_scale_f32 v61, s[12:13], v47, s33, v47
	v_fma_f32 v79, -v62, v71, 1.0
	v_fmac_f32_e32 v70, v78, v70
	v_mul_f32_e32 v77, v59, v69
	v_fma_f32 v84, -v56, v76, v57
	v_fmac_f32_e32 v75, v83, v67
	v_fma_f32 v50, -v52, v74, v53
	v_div_fixup_f32 v44, v48, s33, v44
	v_div_fmas_f32 v48, v49, v65, v73
	s_mov_b64 vcc, s[4:5]
	v_div_scale_f32 v63, s[14:15], v5, s33, v5
	v_fmac_f32_e32 v71, v79, v71
	v_mul_f32_e32 v78, v61, v70
	v_fma_f32 v85, -v58, v77, v59
	v_fmac_f32_e32 v76, v84, v68
	v_fma_f32 v51, -v54, v75, v55
	v_cvt_f16_f32_e32 v44, v44
	v_div_fixup_f32 v2, v48, s33, v2
	v_div_fmas_f32 v48, v50, v66, v74
	s_mov_b64 vcc, s[6:7]
	v_mul_f32_e32 v79, v63, v71
	v_fma_f32 v86, -v60, v78, v61
	v_fmac_f32_e32 v77, v85, v69
	v_fma_f32 v52, -v56, v76, v57
	v_cvt_f16_f32_e32 v2, v2
	v_div_fixup_f32 v45, v48, s33, v45
	v_div_fmas_f32 v48, v51, v67, v75
	s_mov_b64 vcc, s[8:9]
	v_fma_f32 v87, -v62, v79, v63
	v_fmac_f32_e32 v78, v86, v70
	v_fma_f32 v53, -v58, v77, v59
	v_cvt_f16_f32_e32 v45, v45
	v_div_fixup_f32 v3, v48, s33, v3
	v_div_fmas_f32 v48, v52, v68, v76
	s_mov_b64 vcc, s[10:11]
	v_fmac_f32_e32 v79, v87, v71
	v_fma_f32 v54, -v60, v78, v61
	v_cvt_f16_f32_e32 v3, v3
	v_div_fixup_f32 v46, v48, s33, v46
	v_div_fmas_f32 v48, v53, v69, v77
	s_mov_b64 vcc, s[12:13]
	v_fma_f32 v55, -v62, v79, v63
	v_cvt_f32_f16_e32 v44, v44
	v_cvt_f16_f32_e32 v46, v46
	v_div_fixup_f32 v4, v48, s33, v4
	v_div_fmas_f32 v48, v54, v70, v78
	s_mov_b64 vcc, s[14:15]
	v_cvt_f32_f16_e32 v2, v2
	v_cvt_f16_f32_e32 v4, v4
	v_div_fixup_f32 v47, v48, s33, v47
	v_div_fmas_f32 v48, v55, v71, v79
	v_cvt_f32_f16_e32 v45, v45
	v_cvt_f16_f32_e32 v47, v47
	v_div_fixup_f32 v5, v48, s33, v5
	v_cvt_f32_f16_e32 v3, v3
	v_cvt_f16_f32_e32 v5, v5
	v_med3_f32 v48, v44, s74, v40
	v_cvt_f32_f16_e32 v46, v46
	v_cmp_nlg_f32_e64 vcc, |v44|, s73
	v_cvt_f32_f16_e32 v4, v4
	v_cvt_f32_f16_e32 v47, v47
	v_cndmask_b32_e32 v44, v48, v44, vcc
	v_med3_f32 v48, v2, s74, v40
	v_cmp_nlg_f32_e64 vcc, |v2|, s73
	v_cvt_pk_fp8_f32 v34, v44, v44
	v_med3_f32 v44, v45, s74, v40
	v_cndmask_b32_e32 v2, v48, v2, vcc
	v_cmp_nlg_f32_e64 vcc, |v45|, s73
	v_cvt_pk_fp8_f32 v35, v2, v2
	v_cvt_f32_f16_e32 v5, v5
	v_cndmask_b32_e32 v2, v44, v45, vcc
	v_med3_f32 v44, v3, s74, v40
	v_cmp_nlg_f32_e64 vcc, |v3|, s73
	v_cvt_pk_fp8_f32 v36, v2, v2
	s_nop 0
	v_cndmask_b32_e32 v2, v44, v3, vcc
	v_med3_f32 v3, v46, s74, v40
	v_cmp_nlg_f32_e64 vcc, |v46|, s73
	v_cvt_pk_fp8_f32 v37, v2, v2
	s_nop 0
	;; [unrolled: 5-line block ×3, first 2 shown]
	v_cndmask_b32_e32 v2, v3, v4, vcc
	v_med3_f32 v3, v47, s74, v40
	v_cmp_nlg_f32_e64 vcc, |v47|, s73
	v_cvt_pk_fp8_f32 v39, v2, v2
	v_and_b32_e32 v4, 0xff, v34
	v_cndmask_b32_e32 v2, v3, v47, vcc
	v_med3_f32 v3, v5, s74, v40
	v_cmp_nlg_f32_e64 vcc, |v5|, s73
	v_cvt_pk_fp8_f32 v42, v2, v2
	v_lshlrev_b32_e32 v34, 8, v35
	v_cndmask_b32_e32 v2, v3, v5, vcc
	v_cvt_pk_fp8_f32 v43, v2, v2
	v_lshlrev_b32_e32 v3, 16, v36
	v_and_b32_e32 v5, 0xff00, v34
	v_perm_b32 v2, v37, v3, s75
	v_or3_b32 v2, v2, v5, v4
	v_and_b32_e32 v5, 0xff, v42
	v_lshlrev_b32_e32 v34, 24, v43
	v_lshlrev_b32_e32 v5, 16, v5
	v_and_b32_e32 v3, 0xff, v38
	v_lshlrev_b32_sdwa v4, v41, v39 dst_sel:DWORD dst_unused:UNUSED_PAD src0_sel:DWORD src1_sel:BYTE_0
	v_or_b32_e32 v5, v34, v5
	v_or3_b32 v3, v5, v4, v3
	global_store_dwordx2 v[28:29], v[2:3], off
	v_lshl_add_u64 v[28:29], v[28:29], 0, s[56:57]
	s_andn2_b64 exec, exec, s[64:65]
	s_cbranch_execnz .LBB18_29
.LBB18_30:                              ;   in Loop: Header=BB18_9 Depth=1
	s_or_b64 exec, exec, s[62:63]
	v_lshl_add_u32 v2, v15, 3, v6
	v_cmp_lt_i32_e32 vcc, v2, v8
	s_and_saveexec_b64 s[2:3], vcc
	s_cbranch_execz .LBB18_33
; %bb.31:                               ;   in Loop: Header=BB18_9 Depth=1
	v_ashrrev_i32_e32 v3, 31, v2
	v_lshl_add_u64 v[4:5], v[2:3], 1, v[26:27]
	v_lshl_add_u64 v[26:27], v[30:31], 0, v[2:3]
	;; [unrolled: 1-line block ×4, first 2 shown]
	s_mov_b64 s[4:5], 0
.LBB18_32:                              ;   Parent Loop BB18_9 Depth=1
                                        ; =>  This Inner Loop Header: Depth=2
	global_load_ushort v3, v[4:5], off
	v_mov_b32_e32 v15, 0
	v_add_u32_e32 v2, 32, v2
	v_lshl_add_u64 v[4:5], v[4:5], 0, 64
	s_waitcnt vmcnt(0)
	v_cvt_f32_f16_e32 v3, v3
	v_div_scale_f32 v25, s[6:7], s33, s33, v3
	v_rcp_f32_e32 v29, v25
	v_div_scale_f32 v28, vcc, v3, s33, v3
	v_fma_f32 v30, -v25, v29, 1.0
	v_fmac_f32_e32 v29, v30, v29
	v_mul_f32_e32 v30, v28, v29
	v_fma_f32 v31, -v25, v30, v28
	v_fmac_f32_e32 v30, v31, v29
	v_fma_f32 v25, -v25, v30, v28
	v_div_fmas_f32 v25, v25, v29, v30
	v_div_fixup_f32 v3, v25, s33, v3
	v_cvt_f16_f32_e32 v3, v3
	v_cvt_f32_f16_e32 v3, v3
	v_med3_f32 v25, v3, s74, v40
	v_cmp_nlg_f32_e64 vcc, |v3|, s73
	s_nop 1
	v_cndmask_b32_e32 v3, v25, v3, vcc
	v_cvt_pk_fp8_f32 v15, v3, v3
	v_cmp_ge_i32_e32 vcc, v2, v8
	s_or_b64 s[4:5], vcc, s[4:5]
	global_store_byte v[26:27], v15, off
	v_lshl_add_u64 v[26:27], v[26:27], 0, 32
	s_andn2_b64 exec, exec, s[4:5]
	s_cbranch_execnz .LBB18_32
.LBB18_33:                              ;   in Loop: Header=BB18_9 Depth=1
	s_or_b64 exec, exec, s[2:3]
                                        ; implicit-def: $vgpr26_vgpr27
.LBB18_34:                              ;   in Loop: Header=BB18_9 Depth=1
	s_andn2_saveexec_b64 s[60:61], s[60:61]
	s_cbranch_execz .LBB18_8
; %bb.35:                               ;   in Loop: Header=BB18_9 Depth=1
	s_and_saveexec_b64 s[62:63], s[0:1]
	s_cbranch_execz .LBB18_7
; %bb.36:                               ;   in Loop: Header=BB18_9 Depth=1
	v_lshl_add_u64 v[26:27], v[20:21], 0, v[26:27]
	s_mov_b64 s[64:65], 0
	v_mov_b64_e32 v[28:29], v[18:19]
	v_mov_b32_e32 v8, v6
.LBB18_37:                              ;   Parent Loop BB18_9 Depth=1
                                        ; =>  This Inner Loop Header: Depth=2
	global_load_dwordx4 v[2:5], v[26:27], off
	v_add_u32_e32 v8, 32, v8
	v_cmp_le_i32_e32 vcc, s71, v8
	s_or_b64 s[64:65], vcc, s[64:65]
	v_mov_b32_e32 v15, 0
	v_mov_b32_e32 v25, 0
	v_mov_b32_e32 v30, 0
	v_mov_b32_e32 v31, 0
	v_mov_b32_e32 v32, 0
	v_mov_b32_e32 v33, 0
	v_mov_b32_e32 v34, 0
	v_mov_b32_e32 v35, 0
	v_lshl_add_u64 v[26:27], v[26:27], 0, s[58:59]
	s_waitcnt vmcnt(0)
	v_cvt_f32_f16_e32 v36, v2
	v_cvt_f32_f16_sdwa v2, v2 dst_sel:DWORD dst_unused:UNUSED_PAD src0_sel:WORD_1
	v_cvt_f32_f16_e32 v37, v3
	v_cvt_f32_f16_sdwa v3, v3 dst_sel:DWORD dst_unused:UNUSED_PAD src0_sel:WORD_1
	v_cvt_f32_f16_e32 v38, v4
	v_div_scale_f32 v42, s[2:3], s33, s33, v36
	v_cvt_f32_f16_sdwa v4, v4 dst_sel:DWORD dst_unused:UNUSED_PAD src0_sel:WORD_1
	v_div_scale_f32 v44, s[2:3], s33, s33, v2
	v_rcp_f32_e32 v58, v42
	v_cvt_f32_f16_e32 v39, v5
	v_div_scale_f32 v46, s[4:5], s33, s33, v37
	v_rcp_f32_e32 v59, v44
	v_cvt_f32_f16_sdwa v5, v5 dst_sel:DWORD dst_unused:UNUSED_PAD src0_sel:WORD_1
	v_div_scale_f32 v48, s[6:7], s33, s33, v3
	v_rcp_f32_e32 v60, v46
	v_div_scale_f32 v50, s[8:9], s33, s33, v38
	v_rcp_f32_e32 v61, v48
	;; [unrolled: 2-line block ×3, first 2 shown]
	v_fma_f32 v66, -v42, v58, 1.0
	v_div_scale_f32 v43, vcc, v36, s33, v36
	v_div_scale_f32 v54, s[12:13], s33, s33, v39
	v_rcp_f32_e32 v63, v52
	v_fma_f32 v67, -v44, v59, 1.0
	v_fmac_f32_e32 v58, v66, v58
	v_div_scale_f32 v45, s[2:3], v2, s33, v2
	v_div_scale_f32 v56, s[14:15], s33, s33, v5
	v_rcp_f32_e32 v64, v54
	v_fma_f32 v68, -v46, v60, 1.0
	v_fmac_f32_e32 v59, v67, v59
	v_mul_f32_e32 v66, v43, v58
	v_div_scale_f32 v47, s[4:5], v37, s33, v37
	v_rcp_f32_e32 v65, v56
	v_fma_f32 v69, -v48, v61, 1.0
	v_fmac_f32_e32 v60, v68, v60
	v_mul_f32_e32 v67, v45, v59
	v_fma_f32 v74, -v42, v66, v43
	v_div_scale_f32 v49, s[6:7], v3, s33, v3
	v_fma_f32 v70, -v50, v62, 1.0
	v_fmac_f32_e32 v61, v69, v61
	v_mul_f32_e32 v68, v47, v60
	v_fma_f32 v75, -v44, v67, v45
	v_fmac_f32_e32 v66, v74, v58
	v_div_scale_f32 v51, s[8:9], v38, s33, v38
	v_fma_f32 v71, -v52, v63, 1.0
	v_fmac_f32_e32 v62, v70, v62
	v_mul_f32_e32 v69, v49, v61
	v_fma_f32 v76, -v46, v68, v47
	v_fmac_f32_e32 v67, v75, v59
	v_fma_f32 v42, -v42, v66, v43
	v_div_scale_f32 v53, s[10:11], v4, s33, v4
	v_fma_f32 v72, -v54, v64, 1.0
	v_fmac_f32_e32 v63, v71, v63
	v_mul_f32_e32 v70, v51, v62
	v_fma_f32 v77, -v48, v69, v49
	v_fmac_f32_e32 v68, v76, v60
	v_fma_f32 v43, -v44, v67, v45
	v_div_fmas_f32 v42, v42, v58, v66
	s_mov_b64 vcc, s[2:3]
	v_div_scale_f32 v55, s[12:13], v39, s33, v39
	v_fma_f32 v73, -v56, v65, 1.0
	v_fmac_f32_e32 v64, v72, v64
	v_mul_f32_e32 v71, v53, v63
	v_fma_f32 v78, -v50, v70, v51
	v_fmac_f32_e32 v69, v77, v61
	v_fma_f32 v44, -v46, v68, v47
	v_div_fixup_f32 v36, v42, s33, v36
	v_div_fmas_f32 v42, v43, v59, v67
	s_mov_b64 vcc, s[4:5]
	v_div_scale_f32 v57, s[14:15], v5, s33, v5
	v_fmac_f32_e32 v65, v73, v65
	v_mul_f32_e32 v72, v55, v64
	v_fma_f32 v79, -v52, v71, v53
	v_fmac_f32_e32 v70, v78, v62
	v_fma_f32 v45, -v48, v69, v49
	v_cvt_f16_f32_e32 v36, v36
	v_div_fixup_f32 v2, v42, s33, v2
	v_div_fmas_f32 v42, v44, v60, v68
	s_mov_b64 vcc, s[6:7]
	v_mul_f32_e32 v73, v57, v65
	v_fma_f32 v80, -v54, v72, v55
	v_fmac_f32_e32 v71, v79, v63
	v_fma_f32 v46, -v50, v70, v51
	v_cvt_f16_f32_e32 v2, v2
	v_div_fixup_f32 v37, v42, s33, v37
	v_div_fmas_f32 v42, v45, v61, v69
	s_mov_b64 vcc, s[8:9]
	v_fma_f32 v81, -v56, v73, v57
	v_fmac_f32_e32 v72, v80, v64
	v_fma_f32 v47, -v52, v71, v53
	v_cvt_f16_f32_e32 v37, v37
	v_div_fixup_f32 v3, v42, s33, v3
	v_div_fmas_f32 v42, v46, v62, v70
	s_mov_b64 vcc, s[10:11]
	v_fmac_f32_e32 v73, v81, v65
	v_fma_f32 v48, -v54, v72, v55
	v_cvt_f16_f32_e32 v3, v3
	v_div_fixup_f32 v38, v42, s33, v38
	v_div_fmas_f32 v42, v47, v63, v71
	s_mov_b64 vcc, s[12:13]
	v_fma_f32 v49, -v56, v73, v57
	v_cvt_f32_f16_e32 v36, v36
	v_cvt_f16_f32_e32 v38, v38
	v_div_fixup_f32 v4, v42, s33, v4
	v_div_fmas_f32 v42, v48, v64, v72
	s_mov_b64 vcc, s[14:15]
	v_cvt_f32_f16_e32 v2, v2
	v_cvt_f16_f32_e32 v4, v4
	v_div_fixup_f32 v39, v42, s33, v39
	v_div_fmas_f32 v42, v49, v65, v73
	v_cvt_f32_f16_e32 v37, v37
	v_cvt_f16_f32_e32 v39, v39
	v_div_fixup_f32 v5, v42, s33, v5
	v_cvt_f32_f16_e32 v3, v3
	v_cvt_f16_f32_e32 v5, v5
	v_med3_f32 v42, v36, s74, v40
	v_cvt_f32_f16_e32 v38, v38
	v_cmp_nlg_f32_e64 vcc, |v36|, s73
	v_cvt_f32_f16_e32 v4, v4
	v_cvt_f32_f16_e32 v39, v39
	v_cndmask_b32_e32 v36, v42, v36, vcc
	v_med3_f32 v42, v2, s74, v40
	v_cmp_nlg_f32_e64 vcc, |v2|, s73
	v_cvt_pk_fp8_f32 v15, v36, v36
	v_med3_f32 v36, v37, s74, v40
	v_cndmask_b32_e32 v2, v42, v2, vcc
	v_cmp_nlg_f32_e64 vcc, |v37|, s73
	v_cvt_pk_fp8_f32 v25, v2, v2
	v_cvt_f32_f16_e32 v5, v5
	v_cndmask_b32_e32 v2, v36, v37, vcc
	v_med3_f32 v36, v3, s74, v40
	v_cmp_nlg_f32_e64 vcc, |v3|, s73
	v_cvt_pk_fp8_f32 v30, v2, v2
	s_nop 0
	v_cndmask_b32_e32 v2, v36, v3, vcc
	v_med3_f32 v3, v38, s74, v40
	v_cmp_nlg_f32_e64 vcc, |v38|, s73
	v_cvt_pk_fp8_f32 v31, v2, v2
	s_nop 0
	;; [unrolled: 5-line block ×3, first 2 shown]
	v_cndmask_b32_e32 v2, v3, v4, vcc
	v_med3_f32 v3, v39, s74, v40
	v_cmp_nlg_f32_e64 vcc, |v39|, s73
	v_cvt_pk_fp8_f32 v33, v2, v2
	v_and_b32_e32 v4, 0xff, v15
	v_cndmask_b32_e32 v2, v3, v39, vcc
	v_med3_f32 v3, v5, s74, v40
	v_cmp_nlg_f32_e64 vcc, |v5|, s73
	v_cvt_pk_fp8_f32 v34, v2, v2
	v_lshlrev_b32_e32 v15, 8, v25
	v_cndmask_b32_e32 v2, v3, v5, vcc
	v_cvt_pk_fp8_f32 v35, v2, v2
	v_lshlrev_b32_e32 v3, 16, v30
	v_and_b32_e32 v5, 0xff00, v15
	v_perm_b32 v2, v31, v3, s75
	v_or3_b32 v2, v2, v5, v4
	v_and_b32_e32 v5, 0xff, v34
	v_lshlrev_b32_e32 v15, 24, v35
	v_lshlrev_b32_e32 v5, 16, v5
	v_and_b32_e32 v3, 0xff, v32
	v_lshlrev_b32_sdwa v4, v41, v33 dst_sel:DWORD dst_unused:UNUSED_PAD src0_sel:DWORD src1_sel:BYTE_0
	v_or_b32_e32 v5, v15, v5
	v_or3_b32 v3, v5, v4, v3
	global_store_dwordx2 v[28:29], v[2:3], off
	v_lshl_add_u64 v[28:29], v[28:29], 0, s[56:57]
	s_andn2_b64 exec, exec, s[64:65]
	s_cbranch_execnz .LBB18_37
	s_branch .LBB18_7
.LBB18_38:
	s_or_b64 exec, exec, s[44:45]
	s_mov_b64 s[0:1], 0
.LBB18_39:
	s_andn2_b64 vcc, exec, s[0:1]
	s_cbranch_vccnz .LBB18_71
; %bb.40:
	s_and_b32 s0, s42, 15
	s_mov_b32 s1, 0
	s_mul_i32 s35, s37, s36
	s_cmp_lg_u64 s[0:1], 0
	s_cselect_b64 s[0:1], -1, 0
	s_and_b32 s2, s35, 7
	s_cmp_eq_u32 s2, 0
	s_cselect_b64 s[14:15], -1, 0
	s_cmp_lg_u32 s2, 0
	s_cselect_b64 s[2:3], -1, 0
	s_or_b64 s[2:3], s[0:1], s[2:3]
	s_mov_b64 s[0:1], -1
	s_and_b64 vcc, exec, s[2:3]
	s_cbranch_vccz .LBB18_51
; %bb.41:
	s_sub_i32 s0, 0, s42
	s_bfe_u32 s0, s0, 0x30001
	s_min_i32 s28, s0, s35
	v_cmp_gt_i32_e32 vcc, s28, v0
	s_and_saveexec_b64 s[0:1], vcc
	s_cbranch_execz .LBB18_44
; %bb.42:
	v_mov_b32_e32 v1, 0
	s_add_u32 s2, s16, s38
	s_mov_b32 s25, 0
	v_lshlrev_b32_e32 v2, 1, v0
	v_mov_b32_e32 v3, v1
	s_addc_u32 s3, s17, s39
	v_lshl_add_u64 v[2:3], s[2:3], 0, v[2:3]
	s_lshl_b32 s2, s24, 1
	s_mov_b32 s3, s25
	s_mov_b64 s[4:5], 0
	s_mov_b32 s6, 0x7f800000
	s_mov_b32 s7, 0x43e00000
	v_mov_b32_e32 v6, 0xc3e00000
	v_mov_b64_e32 v[4:5], v[0:1]
.LBB18_43:                              ; =>This Inner Loop Header: Depth=1
	global_load_ushort v1, v[2:3], off
	v_lshl_add_u64 v[2:3], v[2:3], 0, s[2:3]
	s_waitcnt vmcnt(0)
	v_cvt_f32_f16_e32 v1, v1
	v_div_scale_f32 v7, s[8:9], s70, s70, v1
	v_rcp_f32_e32 v8, v7
	v_div_scale_f32 v9, vcc, v1, s70, v1
	v_fma_f32 v10, -v7, v8, 1.0
	v_fmac_f32_e32 v8, v10, v8
	v_mul_f32_e32 v10, v9, v8
	v_fma_f32 v11, -v7, v10, v9
	v_fmac_f32_e32 v10, v11, v8
	v_fma_f32 v7, -v7, v10, v9
	v_div_fmas_f32 v7, v7, v8, v10
	v_div_fixup_f32 v1, v7, s70, v1
	v_cvt_f16_f32_e32 v1, v1
	v_mov_b32_e32 v7, 0
	v_lshl_add_u64 v[8:9], s[40:41], 0, v[4:5]
	v_lshl_add_u64 v[4:5], v[4:5], 0, s[24:25]
	v_cvt_f32_f16_e32 v1, v1
	v_med3_f32 v10, v1, s7, v6
	v_cmp_nlg_f32_e64 vcc, |v1|, s6
	s_nop 1
	v_cndmask_b32_e32 v1, v10, v1, vcc
	v_cvt_pk_fp8_f32 v7, v1, v1
	v_cmp_le_i32_e32 vcc, s28, v4
	s_or_b64 s[4:5], vcc, s[4:5]
	global_store_byte v[8:9], v7, off
	s_andn2_b64 exec, exec, s[4:5]
	s_cbranch_execnz .LBB18_43
.LBB18_44:
	s_or_b64 exec, exec, s[0:1]
	s_sub_i32 s25, s35, s28
	s_ashr_i32 s0, s25, 31
	s_lshr_b32 s0, s0, 29
	s_add_i32 s0, s25, s0
	s_ashr_i32 s46, s0, 3
	s_ashr_i32 s29, s28, 31
	v_cmp_gt_i32_e32 vcc, s46, v0
	s_and_saveexec_b64 s[36:37], vcc
	s_cbranch_execz .LBB18_47
; %bb.45:
	s_add_u32 s0, s28, s67
	s_addc_u32 s1, s29, s66
	s_add_u32 s0, s0, s69
	s_addc_u32 s1, s1, s68
	s_add_u32 s0, s20, s0
	v_lshlrev_b32_e32 v2, 3, v0
	v_mov_b32_e32 v3, 0
	s_addc_u32 s1, s21, s1
	v_lshl_add_u64 v[6:7], s[0:1], 0, v[2:3]
	s_lshl_b32 s40, s24, 3
	s_lshl_b64 s[0:1], s[28:29], 1
	s_add_u32 s0, s16, s0
	s_addc_u32 s1, s17, s1
	s_add_u32 s0, s0, s38
	s_mov_b32 s41, 0
	v_lshlrev_b32_e32 v2, 4, v0
	s_addc_u32 s1, s1, s39
	v_lshl_add_u64 v[8:9], s[0:1], 0, v[2:3]
	s_lshl_b32 s42, s24, 4
	s_mov_b32 s43, s41
	s_mov_b64 s[44:45], 0
	s_mov_b32 s47, 0x7f800000
	s_mov_b32 s48, 0x43e00000
	v_mov_b32_e32 v1, 0xc3e00000
	s_mov_b32 s49, 0x4020c0c
	v_mov_b32_e32 v10, 8
	v_mov_b32_e32 v11, v0
.LBB18_46:                              ; =>This Inner Loop Header: Depth=1
	global_load_dwordx4 v[2:5], v[8:9], off
	v_add_u32_e32 v11, s24, v11
	v_cmp_le_i32_e32 vcc, s46, v11
	s_or_b64 s[44:45], vcc, s[44:45]
	v_mov_b32_e32 v12, 0
	v_mov_b32_e32 v13, 0
	;; [unrolled: 1-line block ×8, first 2 shown]
	v_lshl_add_u64 v[8:9], v[8:9], 0, s[42:43]
	s_waitcnt vmcnt(0)
	v_cvt_f32_f16_e32 v20, v2
	v_cvt_f32_f16_sdwa v2, v2 dst_sel:DWORD dst_unused:UNUSED_PAD src0_sel:WORD_1
	v_cvt_f32_f16_e32 v21, v3
	v_cvt_f32_f16_sdwa v3, v3 dst_sel:DWORD dst_unused:UNUSED_PAD src0_sel:WORD_1
	v_cvt_f32_f16_e32 v22, v4
	v_div_scale_f32 v24, s[0:1], s70, s70, v20
	v_cvt_f32_f16_sdwa v4, v4 dst_sel:DWORD dst_unused:UNUSED_PAD src0_sel:WORD_1
	v_div_scale_f32 v26, s[0:1], s70, s70, v2
	v_rcp_f32_e32 v40, v24
	v_cvt_f32_f16_e32 v23, v5
	v_div_scale_f32 v28, s[2:3], s70, s70, v21
	v_rcp_f32_e32 v41, v26
	v_cvt_f32_f16_sdwa v5, v5 dst_sel:DWORD dst_unused:UNUSED_PAD src0_sel:WORD_1
	v_div_scale_f32 v30, s[4:5], s70, s70, v3
	v_rcp_f32_e32 v42, v28
	v_div_scale_f32 v32, s[6:7], s70, s70, v22
	v_rcp_f32_e32 v43, v30
	;; [unrolled: 2-line block ×3, first 2 shown]
	v_fma_f32 v48, -v24, v40, 1.0
	v_div_scale_f32 v25, vcc, v20, s70, v20
	v_div_scale_f32 v36, s[10:11], s70, s70, v23
	v_rcp_f32_e32 v45, v34
	v_fma_f32 v49, -v26, v41, 1.0
	v_fmac_f32_e32 v40, v48, v40
	v_div_scale_f32 v27, s[0:1], v2, s70, v2
	v_div_scale_f32 v38, s[12:13], s70, s70, v5
	v_rcp_f32_e32 v46, v36
	v_fma_f32 v50, -v28, v42, 1.0
	v_fmac_f32_e32 v41, v49, v41
	v_mul_f32_e32 v48, v25, v40
	v_div_scale_f32 v29, s[2:3], v21, s70, v21
	v_rcp_f32_e32 v47, v38
	v_fma_f32 v51, -v30, v43, 1.0
	v_fmac_f32_e32 v42, v50, v42
	v_mul_f32_e32 v49, v27, v41
	v_fma_f32 v56, -v24, v48, v25
	v_div_scale_f32 v31, s[4:5], v3, s70, v3
	v_fma_f32 v52, -v32, v44, 1.0
	v_fmac_f32_e32 v43, v51, v43
	v_mul_f32_e32 v50, v29, v42
	v_fma_f32 v57, -v26, v49, v27
	v_fmac_f32_e32 v48, v56, v40
	v_div_scale_f32 v33, s[6:7], v22, s70, v22
	v_fma_f32 v53, -v34, v45, 1.0
	v_fmac_f32_e32 v44, v52, v44
	v_mul_f32_e32 v51, v31, v43
	v_fma_f32 v58, -v28, v50, v29
	v_fmac_f32_e32 v49, v57, v41
	v_fma_f32 v24, -v24, v48, v25
	v_div_scale_f32 v35, s[8:9], v4, s70, v4
	v_fma_f32 v54, -v36, v46, 1.0
	v_fmac_f32_e32 v45, v53, v45
	v_mul_f32_e32 v52, v33, v44
	v_fma_f32 v59, -v30, v51, v31
	v_fmac_f32_e32 v50, v58, v42
	v_fma_f32 v25, -v26, v49, v27
	v_div_fmas_f32 v24, v24, v40, v48
	s_mov_b64 vcc, s[0:1]
	v_div_scale_f32 v37, s[10:11], v23, s70, v23
	v_fma_f32 v55, -v38, v47, 1.0
	v_fmac_f32_e32 v46, v54, v46
	v_mul_f32_e32 v53, v35, v45
	v_fma_f32 v60, -v32, v52, v33
	v_fmac_f32_e32 v51, v59, v43
	v_fma_f32 v26, -v28, v50, v29
	v_div_fixup_f32 v20, v24, s70, v20
	v_div_fmas_f32 v24, v25, v41, v49
	s_mov_b64 vcc, s[2:3]
	v_div_scale_f32 v39, s[12:13], v5, s70, v5
	v_fmac_f32_e32 v47, v55, v47
	v_mul_f32_e32 v54, v37, v46
	v_fma_f32 v61, -v34, v53, v35
	v_fmac_f32_e32 v52, v60, v44
	v_fma_f32 v27, -v30, v51, v31
	v_cvt_f16_f32_e32 v20, v20
	v_div_fixup_f32 v2, v24, s70, v2
	v_div_fmas_f32 v24, v26, v42, v50
	s_mov_b64 vcc, s[4:5]
	v_mul_f32_e32 v55, v39, v47
	v_fma_f32 v62, -v36, v54, v37
	v_fmac_f32_e32 v53, v61, v45
	v_fma_f32 v28, -v32, v52, v33
	v_cvt_f16_f32_e32 v2, v2
	v_div_fixup_f32 v21, v24, s70, v21
	v_div_fmas_f32 v24, v27, v43, v51
	s_mov_b64 vcc, s[6:7]
	v_fma_f32 v63, -v38, v55, v39
	v_fmac_f32_e32 v54, v62, v46
	v_fma_f32 v29, -v34, v53, v35
	v_cvt_f16_f32_e32 v21, v21
	v_div_fixup_f32 v3, v24, s70, v3
	v_div_fmas_f32 v24, v28, v44, v52
	s_mov_b64 vcc, s[8:9]
	v_fmac_f32_e32 v55, v63, v47
	v_fma_f32 v30, -v36, v54, v37
	v_cvt_f16_f32_e32 v3, v3
	v_div_fixup_f32 v22, v24, s70, v22
	v_div_fmas_f32 v24, v29, v45, v53
	s_mov_b64 vcc, s[10:11]
	v_fma_f32 v31, -v38, v55, v39
	v_cvt_f32_f16_e32 v20, v20
	v_cvt_f16_f32_e32 v22, v22
	v_div_fixup_f32 v4, v24, s70, v4
	v_div_fmas_f32 v24, v30, v46, v54
	s_mov_b64 vcc, s[12:13]
	v_cvt_f32_f16_e32 v2, v2
	v_cvt_f16_f32_e32 v4, v4
	v_div_fixup_f32 v23, v24, s70, v23
	v_div_fmas_f32 v24, v31, v47, v55
	v_cvt_f32_f16_e32 v21, v21
	v_cvt_f16_f32_e32 v23, v23
	v_div_fixup_f32 v5, v24, s70, v5
	v_cvt_f32_f16_e32 v3, v3
	v_cvt_f16_f32_e32 v5, v5
	v_med3_f32 v24, v20, s48, v1
	v_cvt_f32_f16_e32 v22, v22
	v_cmp_nlg_f32_e64 vcc, |v20|, s47
	v_cvt_f32_f16_e32 v4, v4
	v_cvt_f32_f16_e32 v23, v23
	v_cndmask_b32_e32 v20, v24, v20, vcc
	v_med3_f32 v24, v2, s48, v1
	v_cmp_nlg_f32_e64 vcc, |v2|, s47
	v_cvt_pk_fp8_f32 v12, v20, v20
	v_med3_f32 v20, v21, s48, v1
	v_cndmask_b32_e32 v2, v24, v2, vcc
	v_cmp_nlg_f32_e64 vcc, |v21|, s47
	v_cvt_pk_fp8_f32 v13, v2, v2
	v_cvt_f32_f16_e32 v5, v5
	v_cndmask_b32_e32 v2, v20, v21, vcc
	v_med3_f32 v20, v3, s48, v1
	v_cmp_nlg_f32_e64 vcc, |v3|, s47
	v_cvt_pk_fp8_f32 v14, v2, v2
	s_nop 0
	v_cndmask_b32_e32 v2, v20, v3, vcc
	v_med3_f32 v3, v22, s48, v1
	v_cmp_nlg_f32_e64 vcc, |v22|, s47
	v_cvt_pk_fp8_f32 v15, v2, v2
	s_nop 0
	;; [unrolled: 5-line block ×3, first 2 shown]
	v_cndmask_b32_e32 v2, v3, v4, vcc
	v_med3_f32 v3, v23, s48, v1
	v_cmp_nlg_f32_e64 vcc, |v23|, s47
	v_cvt_pk_fp8_f32 v17, v2, v2
	v_and_b32_e32 v4, 0xff, v12
	v_cndmask_b32_e32 v2, v3, v23, vcc
	v_med3_f32 v3, v5, s48, v1
	v_cmp_nlg_f32_e64 vcc, |v5|, s47
	v_cvt_pk_fp8_f32 v18, v2, v2
	v_lshlrev_b32_e32 v12, 8, v13
	v_cndmask_b32_e32 v2, v3, v5, vcc
	v_cvt_pk_fp8_f32 v19, v2, v2
	v_lshlrev_b32_e32 v3, 16, v14
	v_and_b32_e32 v5, 0xff00, v12
	v_perm_b32 v2, v15, v3, s49
	v_or3_b32 v2, v2, v5, v4
	v_and_b32_e32 v5, 0xff, v18
	v_lshlrev_b32_e32 v12, 24, v19
	v_lshlrev_b32_e32 v5, 16, v5
	v_and_b32_e32 v3, 0xff, v16
	v_lshlrev_b32_sdwa v4, v10, v17 dst_sel:DWORD dst_unused:UNUSED_PAD src0_sel:DWORD src1_sel:BYTE_0
	v_or_b32_e32 v5, v12, v5
	v_or3_b32 v3, v5, v4, v3
	global_store_dwordx2 v[6:7], v[2:3], off
	v_lshl_add_u64 v[6:7], v[6:7], 0, s[40:41]
	s_andn2_b64 exec, exec, s[44:45]
	s_cbranch_execnz .LBB18_46
.LBB18_47:
	s_or_b64 exec, exec, s[36:37]
	v_lshl_add_u32 v2, s46, 3, v0
	v_cmp_gt_i32_e32 vcc, s25, v2
	s_and_saveexec_b64 s[0:1], vcc
	s_cbranch_execz .LBB18_50
; %bb.48:
	s_lshl_b64 s[4:5], s[28:29], 1
	s_add_u32 s2, s38, s4
	s_addc_u32 s5, s39, s5
	s_add_u32 s4, s16, s2
	v_ashrrev_i32_e32 v3, 31, v2
	s_addc_u32 s5, s17, s5
	s_lshl_b32 s2, s24, 1
	v_lshl_add_u64 v[4:5], v[2:3], 1, s[4:5]
	s_add_u32 s4, s28, s67
	s_addc_u32 s5, s29, s66
	s_add_u32 s4, s4, s69
	s_addc_u32 s5, s5, s68
	;; [unrolled: 2-line block ×3, first 2 shown]
	s_mov_b32 s3, 0
	v_lshl_add_u64 v[6:7], s[4:5], 0, v[2:3]
	s_mov_b64 s[4:5], 0
	s_mov_b32 s8, 0x7f800000
	s_mov_b32 s9, 0x43e00000
	v_mov_b32_e32 v1, 0xc3e00000
	s_mov_b64 s[6:7], 0
.LBB18_49:                              ; =>This Inner Loop Header: Depth=1
	global_load_ushort v3, v[4:5], off
	v_lshl_add_u64 v[8:9], v[6:7], 0, s[6:7]
	s_add_u32 s6, s6, s24
	s_addc_u32 s7, s7, 0
	v_lshl_add_u64 v[4:5], v[4:5], 0, s[2:3]
	s_waitcnt vmcnt(0)
	v_cvt_f32_f16_e32 v3, v3
	v_div_scale_f32 v10, s[10:11], s70, s70, v3
	v_rcp_f32_e32 v11, v10
	v_div_scale_f32 v12, vcc, v3, s70, v3
	v_fma_f32 v13, -v10, v11, 1.0
	v_fmac_f32_e32 v11, v13, v11
	v_mul_f32_e32 v13, v12, v11
	v_fma_f32 v14, -v10, v13, v12
	v_fmac_f32_e32 v13, v14, v11
	v_fma_f32 v10, -v10, v13, v12
	v_div_fmas_f32 v10, v10, v11, v13
	v_div_fixup_f32 v3, v10, s70, v3
	v_cvt_f16_f32_e32 v3, v3
	v_mov_b32_e32 v10, 0
	v_cvt_f32_f16_e32 v3, v3
	v_med3_f32 v11, v3, s9, v1
	v_cmp_nlg_f32_e64 vcc, |v3|, s8
	s_nop 1
	v_cndmask_b32_e32 v3, v11, v3, vcc
	v_cvt_pk_fp8_f32 v10, v3, v3
	v_add_u32_e32 v3, s6, v2
	v_cmp_le_i32_e32 vcc, s25, v3
	s_or_b64 s[4:5], vcc, s[4:5]
	global_store_byte v[8:9], v10, off
	s_andn2_b64 exec, exec, s[4:5]
	s_cbranch_execnz .LBB18_49
.LBB18_50:
	s_or_b64 exec, exec, s[0:1]
	s_mov_b64 s[0:1], 0
.LBB18_51:
	s_and_b64 vcc, exec, s[0:1]
	s_cbranch_vccz .LBB18_56
; %bb.52:
	s_ashr_i32 s25, s35, 3
	v_cmp_gt_i32_e32 vcc, s25, v0
	s_and_saveexec_b64 s[28:29], vcc
	s_cbranch_execz .LBB18_55
; %bb.53:
	s_add_u32 s0, s67, s69
	s_addc_u32 s1, s66, s68
	s_add_u32 s0, s20, s0
	v_lshlrev_b32_e32 v2, 3, v0
	v_mov_b32_e32 v3, 0
	s_addc_u32 s1, s21, s1
	s_lshl_b32 s36, s24, 3
	v_lshl_add_u64 v[6:7], s[0:1], 0, v[2:3]
	s_add_u32 s0, s16, s38
	s_mov_b32 s37, 0
	v_lshlrev_b32_e32 v2, 4, v0
	s_addc_u32 s1, s17, s39
	v_lshl_add_u64 v[8:9], s[0:1], 0, v[2:3]
	s_lshl_b32 s16, s24, 4
	s_mov_b32 s17, s37
	s_mov_b64 s[20:21], 0
	s_mov_b32 s38, 0x7f800000
	s_mov_b32 s39, 0x43e00000
	v_mov_b32_e32 v1, 0xc3e00000
	s_mov_b32 s40, 0x4020c0c
	v_mov_b32_e32 v10, 8
	v_mov_b32_e32 v11, v0
.LBB18_54:                              ; =>This Inner Loop Header: Depth=1
	global_load_dwordx4 v[2:5], v[8:9], off
	v_add_u32_e32 v11, s24, v11
	v_cmp_le_i32_e32 vcc, s25, v11
	s_or_b64 s[20:21], vcc, s[20:21]
	v_mov_b32_e32 v12, 0
	v_mov_b32_e32 v13, 0
	;; [unrolled: 1-line block ×8, first 2 shown]
	v_lshl_add_u64 v[8:9], v[8:9], 0, s[16:17]
	s_waitcnt vmcnt(0)
	v_cvt_f32_f16_e32 v20, v2
	v_cvt_f32_f16_sdwa v2, v2 dst_sel:DWORD dst_unused:UNUSED_PAD src0_sel:WORD_1
	v_cvt_f32_f16_e32 v21, v3
	v_cvt_f32_f16_sdwa v3, v3 dst_sel:DWORD dst_unused:UNUSED_PAD src0_sel:WORD_1
	v_cvt_f32_f16_e32 v22, v4
	v_div_scale_f32 v24, s[0:1], s70, s70, v20
	v_cvt_f32_f16_sdwa v4, v4 dst_sel:DWORD dst_unused:UNUSED_PAD src0_sel:WORD_1
	v_div_scale_f32 v26, s[0:1], s70, s70, v2
	v_rcp_f32_e32 v40, v24
	v_cvt_f32_f16_e32 v23, v5
	v_div_scale_f32 v28, s[2:3], s70, s70, v21
	v_rcp_f32_e32 v41, v26
	v_cvt_f32_f16_sdwa v5, v5 dst_sel:DWORD dst_unused:UNUSED_PAD src0_sel:WORD_1
	v_div_scale_f32 v30, s[4:5], s70, s70, v3
	v_rcp_f32_e32 v42, v28
	v_div_scale_f32 v32, s[6:7], s70, s70, v22
	v_rcp_f32_e32 v43, v30
	;; [unrolled: 2-line block ×3, first 2 shown]
	v_fma_f32 v48, -v24, v40, 1.0
	v_div_scale_f32 v25, vcc, v20, s70, v20
	v_div_scale_f32 v36, s[10:11], s70, s70, v23
	v_rcp_f32_e32 v45, v34
	v_fma_f32 v49, -v26, v41, 1.0
	v_fmac_f32_e32 v40, v48, v40
	v_div_scale_f32 v27, s[0:1], v2, s70, v2
	v_div_scale_f32 v38, s[12:13], s70, s70, v5
	v_rcp_f32_e32 v46, v36
	v_fma_f32 v50, -v28, v42, 1.0
	v_fmac_f32_e32 v41, v49, v41
	v_mul_f32_e32 v48, v25, v40
	v_div_scale_f32 v29, s[2:3], v21, s70, v21
	v_rcp_f32_e32 v47, v38
	v_fma_f32 v51, -v30, v43, 1.0
	v_fmac_f32_e32 v42, v50, v42
	v_mul_f32_e32 v49, v27, v41
	v_fma_f32 v56, -v24, v48, v25
	v_div_scale_f32 v31, s[4:5], v3, s70, v3
	v_fma_f32 v52, -v32, v44, 1.0
	v_fmac_f32_e32 v43, v51, v43
	v_mul_f32_e32 v50, v29, v42
	v_fma_f32 v57, -v26, v49, v27
	v_fmac_f32_e32 v48, v56, v40
	v_div_scale_f32 v33, s[6:7], v22, s70, v22
	v_fma_f32 v53, -v34, v45, 1.0
	v_fmac_f32_e32 v44, v52, v44
	v_mul_f32_e32 v51, v31, v43
	v_fma_f32 v58, -v28, v50, v29
	v_fmac_f32_e32 v49, v57, v41
	v_fma_f32 v24, -v24, v48, v25
	v_div_scale_f32 v35, s[8:9], v4, s70, v4
	v_fma_f32 v54, -v36, v46, 1.0
	v_fmac_f32_e32 v45, v53, v45
	v_mul_f32_e32 v52, v33, v44
	v_fma_f32 v59, -v30, v51, v31
	v_fmac_f32_e32 v50, v58, v42
	v_fma_f32 v25, -v26, v49, v27
	v_div_fmas_f32 v24, v24, v40, v48
	s_mov_b64 vcc, s[0:1]
	v_div_scale_f32 v37, s[10:11], v23, s70, v23
	v_fma_f32 v55, -v38, v47, 1.0
	v_fmac_f32_e32 v46, v54, v46
	v_mul_f32_e32 v53, v35, v45
	v_fma_f32 v60, -v32, v52, v33
	v_fmac_f32_e32 v51, v59, v43
	v_fma_f32 v26, -v28, v50, v29
	v_div_fixup_f32 v20, v24, s70, v20
	v_div_fmas_f32 v24, v25, v41, v49
	s_mov_b64 vcc, s[2:3]
	v_div_scale_f32 v39, s[12:13], v5, s70, v5
	v_fmac_f32_e32 v47, v55, v47
	v_mul_f32_e32 v54, v37, v46
	v_fma_f32 v61, -v34, v53, v35
	v_fmac_f32_e32 v52, v60, v44
	v_fma_f32 v27, -v30, v51, v31
	v_cvt_f16_f32_e32 v20, v20
	v_div_fixup_f32 v2, v24, s70, v2
	v_div_fmas_f32 v24, v26, v42, v50
	s_mov_b64 vcc, s[4:5]
	v_mul_f32_e32 v55, v39, v47
	v_fma_f32 v62, -v36, v54, v37
	v_fmac_f32_e32 v53, v61, v45
	v_fma_f32 v28, -v32, v52, v33
	v_cvt_f16_f32_e32 v2, v2
	v_div_fixup_f32 v21, v24, s70, v21
	v_div_fmas_f32 v24, v27, v43, v51
	s_mov_b64 vcc, s[6:7]
	v_fma_f32 v63, -v38, v55, v39
	v_fmac_f32_e32 v54, v62, v46
	v_fma_f32 v29, -v34, v53, v35
	v_cvt_f16_f32_e32 v21, v21
	v_div_fixup_f32 v3, v24, s70, v3
	v_div_fmas_f32 v24, v28, v44, v52
	s_mov_b64 vcc, s[8:9]
	v_fmac_f32_e32 v55, v63, v47
	v_fma_f32 v30, -v36, v54, v37
	v_cvt_f16_f32_e32 v3, v3
	v_div_fixup_f32 v22, v24, s70, v22
	v_div_fmas_f32 v24, v29, v45, v53
	s_mov_b64 vcc, s[10:11]
	v_fma_f32 v31, -v38, v55, v39
	v_cvt_f32_f16_e32 v20, v20
	v_cvt_f16_f32_e32 v22, v22
	v_div_fixup_f32 v4, v24, s70, v4
	v_div_fmas_f32 v24, v30, v46, v54
	s_mov_b64 vcc, s[12:13]
	v_cvt_f32_f16_e32 v2, v2
	v_cvt_f16_f32_e32 v4, v4
	v_div_fixup_f32 v23, v24, s70, v23
	v_div_fmas_f32 v24, v31, v47, v55
	v_cvt_f32_f16_e32 v21, v21
	v_cvt_f16_f32_e32 v23, v23
	v_div_fixup_f32 v5, v24, s70, v5
	v_cvt_f32_f16_e32 v3, v3
	v_cvt_f16_f32_e32 v5, v5
	v_med3_f32 v24, v20, s39, v1
	v_cvt_f32_f16_e32 v22, v22
	v_cmp_nlg_f32_e64 vcc, |v20|, s38
	v_cvt_f32_f16_e32 v4, v4
	v_cvt_f32_f16_e32 v23, v23
	v_cndmask_b32_e32 v20, v24, v20, vcc
	v_med3_f32 v24, v2, s39, v1
	v_cmp_nlg_f32_e64 vcc, |v2|, s38
	v_cvt_pk_fp8_f32 v12, v20, v20
	v_med3_f32 v20, v21, s39, v1
	v_cndmask_b32_e32 v2, v24, v2, vcc
	v_cmp_nlg_f32_e64 vcc, |v21|, s38
	v_cvt_pk_fp8_f32 v13, v2, v2
	v_cvt_f32_f16_e32 v5, v5
	v_cndmask_b32_e32 v2, v20, v21, vcc
	v_med3_f32 v20, v3, s39, v1
	v_cmp_nlg_f32_e64 vcc, |v3|, s38
	v_cvt_pk_fp8_f32 v14, v2, v2
	s_nop 0
	v_cndmask_b32_e32 v2, v20, v3, vcc
	v_med3_f32 v3, v22, s39, v1
	v_cmp_nlg_f32_e64 vcc, |v22|, s38
	v_cvt_pk_fp8_f32 v15, v2, v2
	s_nop 0
	;; [unrolled: 5-line block ×3, first 2 shown]
	v_cndmask_b32_e32 v2, v3, v4, vcc
	v_med3_f32 v3, v23, s39, v1
	v_cmp_nlg_f32_e64 vcc, |v23|, s38
	v_cvt_pk_fp8_f32 v17, v2, v2
	v_and_b32_e32 v4, 0xff, v12
	v_cndmask_b32_e32 v2, v3, v23, vcc
	v_med3_f32 v3, v5, s39, v1
	v_cmp_nlg_f32_e64 vcc, |v5|, s38
	v_cvt_pk_fp8_f32 v18, v2, v2
	v_lshlrev_b32_e32 v12, 8, v13
	v_cndmask_b32_e32 v2, v3, v5, vcc
	v_cvt_pk_fp8_f32 v19, v2, v2
	v_lshlrev_b32_e32 v3, 16, v14
	v_and_b32_e32 v5, 0xff00, v12
	v_perm_b32 v2, v15, v3, s40
	v_or3_b32 v2, v2, v5, v4
	v_and_b32_e32 v5, 0xff, v18
	v_lshlrev_b32_e32 v12, 24, v19
	v_lshlrev_b32_e32 v5, 16, v5
	v_and_b32_e32 v3, 0xff, v16
	v_lshlrev_b32_sdwa v4, v10, v17 dst_sel:DWORD dst_unused:UNUSED_PAD src0_sel:DWORD src1_sel:BYTE_0
	v_or_b32_e32 v5, v12, v5
	v_or3_b32 v3, v5, v4, v3
	global_store_dwordx2 v[6:7], v[2:3], off
	v_lshl_add_u64 v[6:7], v[6:7], 0, s[36:37]
	s_andn2_b64 exec, exec, s[20:21]
	s_cbranch_execnz .LBB18_54
.LBB18_55:
	s_or_b64 exec, exec, s[28:29]
.LBB18_56:
	s_and_b32 s0, s34, 15
	s_mov_b32 s1, 0
	s_cmp_lg_u64 s[0:1], 0
	s_cselect_b64 s[2:3], -1, 0
	s_xor_b64 s[4:5], s[14:15], -1
	s_or_b64 s[2:3], s[4:5], s[2:3]
	s_mov_b64 s[0:1], -1
	s_and_b64 vcc, exec, s[2:3]
	s_cbranch_vccz .LBB18_67
; %bb.57:
	s_sub_i32 s0, 0, s34
	s_bfe_u32 s0, s0, 0x30001
	s_min_i32 s14, s0, s35
	v_cmp_gt_i32_e32 vcc, s14, v0
	s_and_saveexec_b64 s[0:1], vcc
	s_cbranch_execz .LBB18_60
; %bb.58:
	v_mov_b32_e32 v1, 0
	s_add_u32 s2, s18, s30
	s_mov_b32 s25, 0
	v_lshlrev_b32_e32 v2, 1, v0
	v_mov_b32_e32 v3, v1
	s_addc_u32 s3, s19, s31
	v_lshl_add_u64 v[2:3], s[2:3], 0, v[2:3]
	s_lshl_b32 s2, s24, 1
	s_mov_b32 s3, s25
	s_mov_b64 s[4:5], 0
	s_mov_b32 s6, 0x7f800000
	s_mov_b32 s7, 0x43e00000
	v_mov_b32_e32 v6, 0xc3e00000
	v_mov_b64_e32 v[4:5], v[0:1]
.LBB18_59:                              ; =>This Inner Loop Header: Depth=1
	global_load_ushort v1, v[2:3], off
	v_lshl_add_u64 v[2:3], v[2:3], 0, s[2:3]
	s_waitcnt vmcnt(0)
	v_cvt_f32_f16_e32 v1, v1
	v_div_scale_f32 v7, s[8:9], s33, s33, v1
	v_rcp_f32_e32 v8, v7
	v_div_scale_f32 v9, vcc, v1, s33, v1
	v_fma_f32 v10, -v7, v8, 1.0
	v_fmac_f32_e32 v8, v10, v8
	v_mul_f32_e32 v10, v9, v8
	v_fma_f32 v11, -v7, v10, v9
	v_fmac_f32_e32 v10, v11, v8
	v_fma_f32 v7, -v7, v10, v9
	v_div_fmas_f32 v7, v7, v8, v10
	v_div_fixup_f32 v1, v7, s33, v1
	v_cvt_f16_f32_e32 v1, v1
	v_mov_b32_e32 v7, 0
	v_lshl_add_u64 v[8:9], s[26:27], 0, v[4:5]
	v_lshl_add_u64 v[4:5], v[4:5], 0, s[24:25]
	v_cvt_f32_f16_e32 v1, v1
	v_med3_f32 v10, v1, s7, v6
	v_cmp_nlg_f32_e64 vcc, |v1|, s6
	s_nop 1
	v_cndmask_b32_e32 v1, v10, v1, vcc
	v_cvt_pk_fp8_f32 v7, v1, v1
	v_cmp_le_i32_e32 vcc, s14, v4
	s_or_b64 s[4:5], vcc, s[4:5]
	global_store_byte v[8:9], v7, off
	s_andn2_b64 exec, exec, s[4:5]
	s_cbranch_execnz .LBB18_59
.LBB18_60:
	s_or_b64 exec, exec, s[0:1]
	s_sub_i32 s25, s35, s14
	s_ashr_i32 s0, s25, 31
	s_lshr_b32 s0, s0, 29
	s_add_i32 s0, s25, s0
	s_ashr_i32 s34, s0, 3
	s_ashr_i32 s15, s14, 31
	v_cmp_gt_i32_e32 vcc, s34, v0
	s_and_saveexec_b64 s[16:17], vcc
	s_cbranch_execz .LBB18_63
; %bb.61:
	s_add_u32 s0, s14, s67
	s_addc_u32 s1, s15, s66
	s_add_u32 s0, s0, s69
	s_addc_u32 s1, s1, s68
	s_add_u32 s0, s22, s0
	v_lshlrev_b32_e32 v2, 3, v0
	v_mov_b32_e32 v3, 0
	s_addc_u32 s1, s23, s1
	v_lshl_add_u64 v[6:7], s[0:1], 0, v[2:3]
	s_lshl_b32 s20, s24, 3
	s_lshl_b64 s[0:1], s[14:15], 1
	s_add_u32 s0, s18, s0
	s_addc_u32 s1, s19, s1
	s_add_u32 s0, s0, s30
	s_mov_b32 s21, 0
	v_lshlrev_b32_e32 v2, 4, v0
	s_addc_u32 s1, s1, s31
	v_lshl_add_u64 v[8:9], s[0:1], 0, v[2:3]
	s_lshl_b32 s26, s24, 4
	s_mov_b32 s27, s21
	s_mov_b64 s[28:29], 0
	s_mov_b32 s36, 0x7f800000
	s_mov_b32 s37, 0x43e00000
	v_mov_b32_e32 v1, 0xc3e00000
	s_mov_b32 s38, 0x4020c0c
	v_mov_b32_e32 v10, 8
	v_mov_b32_e32 v11, v0
.LBB18_62:                              ; =>This Inner Loop Header: Depth=1
	global_load_dwordx4 v[2:5], v[8:9], off
	v_add_u32_e32 v11, s24, v11
	v_cmp_le_i32_e32 vcc, s34, v11
	s_or_b64 s[28:29], vcc, s[28:29]
	v_mov_b32_e32 v12, 0
	v_mov_b32_e32 v13, 0
	;; [unrolled: 1-line block ×8, first 2 shown]
	v_lshl_add_u64 v[8:9], v[8:9], 0, s[26:27]
	s_waitcnt vmcnt(0)
	v_cvt_f32_f16_e32 v20, v2
	v_cvt_f32_f16_sdwa v2, v2 dst_sel:DWORD dst_unused:UNUSED_PAD src0_sel:WORD_1
	v_cvt_f32_f16_e32 v21, v3
	v_cvt_f32_f16_sdwa v3, v3 dst_sel:DWORD dst_unused:UNUSED_PAD src0_sel:WORD_1
	v_cvt_f32_f16_e32 v22, v4
	v_div_scale_f32 v24, s[0:1], s33, s33, v20
	v_cvt_f32_f16_sdwa v4, v4 dst_sel:DWORD dst_unused:UNUSED_PAD src0_sel:WORD_1
	v_div_scale_f32 v26, s[0:1], s33, s33, v2
	v_rcp_f32_e32 v40, v24
	v_cvt_f32_f16_e32 v23, v5
	v_div_scale_f32 v28, s[2:3], s33, s33, v21
	v_rcp_f32_e32 v41, v26
	v_cvt_f32_f16_sdwa v5, v5 dst_sel:DWORD dst_unused:UNUSED_PAD src0_sel:WORD_1
	v_div_scale_f32 v30, s[4:5], s33, s33, v3
	v_rcp_f32_e32 v42, v28
	v_div_scale_f32 v32, s[6:7], s33, s33, v22
	v_rcp_f32_e32 v43, v30
	;; [unrolled: 2-line block ×3, first 2 shown]
	v_fma_f32 v48, -v24, v40, 1.0
	v_div_scale_f32 v25, vcc, v20, s33, v20
	v_div_scale_f32 v36, s[10:11], s33, s33, v23
	v_rcp_f32_e32 v45, v34
	v_fma_f32 v49, -v26, v41, 1.0
	v_fmac_f32_e32 v40, v48, v40
	v_div_scale_f32 v27, s[0:1], v2, s33, v2
	v_div_scale_f32 v38, s[12:13], s33, s33, v5
	v_rcp_f32_e32 v46, v36
	v_fma_f32 v50, -v28, v42, 1.0
	v_fmac_f32_e32 v41, v49, v41
	v_mul_f32_e32 v48, v25, v40
	v_div_scale_f32 v29, s[2:3], v21, s33, v21
	v_rcp_f32_e32 v47, v38
	v_fma_f32 v51, -v30, v43, 1.0
	v_fmac_f32_e32 v42, v50, v42
	v_mul_f32_e32 v49, v27, v41
	v_fma_f32 v56, -v24, v48, v25
	v_div_scale_f32 v31, s[4:5], v3, s33, v3
	v_fma_f32 v52, -v32, v44, 1.0
	v_fmac_f32_e32 v43, v51, v43
	v_mul_f32_e32 v50, v29, v42
	v_fma_f32 v57, -v26, v49, v27
	v_fmac_f32_e32 v48, v56, v40
	v_div_scale_f32 v33, s[6:7], v22, s33, v22
	v_fma_f32 v53, -v34, v45, 1.0
	v_fmac_f32_e32 v44, v52, v44
	v_mul_f32_e32 v51, v31, v43
	v_fma_f32 v58, -v28, v50, v29
	v_fmac_f32_e32 v49, v57, v41
	v_fma_f32 v24, -v24, v48, v25
	v_div_scale_f32 v35, s[8:9], v4, s33, v4
	v_fma_f32 v54, -v36, v46, 1.0
	v_fmac_f32_e32 v45, v53, v45
	v_mul_f32_e32 v52, v33, v44
	v_fma_f32 v59, -v30, v51, v31
	v_fmac_f32_e32 v50, v58, v42
	v_fma_f32 v25, -v26, v49, v27
	v_div_fmas_f32 v24, v24, v40, v48
	s_mov_b64 vcc, s[0:1]
	v_div_scale_f32 v37, s[10:11], v23, s33, v23
	v_fma_f32 v55, -v38, v47, 1.0
	v_fmac_f32_e32 v46, v54, v46
	v_mul_f32_e32 v53, v35, v45
	v_fma_f32 v60, -v32, v52, v33
	v_fmac_f32_e32 v51, v59, v43
	v_fma_f32 v26, -v28, v50, v29
	v_div_fixup_f32 v20, v24, s33, v20
	v_div_fmas_f32 v24, v25, v41, v49
	s_mov_b64 vcc, s[2:3]
	v_div_scale_f32 v39, s[12:13], v5, s33, v5
	v_fmac_f32_e32 v47, v55, v47
	v_mul_f32_e32 v54, v37, v46
	v_fma_f32 v61, -v34, v53, v35
	v_fmac_f32_e32 v52, v60, v44
	v_fma_f32 v27, -v30, v51, v31
	v_cvt_f16_f32_e32 v20, v20
	v_div_fixup_f32 v2, v24, s33, v2
	v_div_fmas_f32 v24, v26, v42, v50
	s_mov_b64 vcc, s[4:5]
	v_mul_f32_e32 v55, v39, v47
	v_fma_f32 v62, -v36, v54, v37
	v_fmac_f32_e32 v53, v61, v45
	v_fma_f32 v28, -v32, v52, v33
	v_cvt_f16_f32_e32 v2, v2
	v_div_fixup_f32 v21, v24, s33, v21
	v_div_fmas_f32 v24, v27, v43, v51
	s_mov_b64 vcc, s[6:7]
	v_fma_f32 v63, -v38, v55, v39
	v_fmac_f32_e32 v54, v62, v46
	v_fma_f32 v29, -v34, v53, v35
	v_cvt_f16_f32_e32 v21, v21
	v_div_fixup_f32 v3, v24, s33, v3
	v_div_fmas_f32 v24, v28, v44, v52
	s_mov_b64 vcc, s[8:9]
	v_fmac_f32_e32 v55, v63, v47
	v_fma_f32 v30, -v36, v54, v37
	v_cvt_f16_f32_e32 v3, v3
	v_div_fixup_f32 v22, v24, s33, v22
	v_div_fmas_f32 v24, v29, v45, v53
	s_mov_b64 vcc, s[10:11]
	v_fma_f32 v31, -v38, v55, v39
	v_cvt_f32_f16_e32 v20, v20
	v_cvt_f16_f32_e32 v22, v22
	v_div_fixup_f32 v4, v24, s33, v4
	v_div_fmas_f32 v24, v30, v46, v54
	s_mov_b64 vcc, s[12:13]
	v_cvt_f32_f16_e32 v2, v2
	v_cvt_f16_f32_e32 v4, v4
	v_div_fixup_f32 v23, v24, s33, v23
	v_div_fmas_f32 v24, v31, v47, v55
	v_cvt_f32_f16_e32 v21, v21
	v_cvt_f16_f32_e32 v23, v23
	v_div_fixup_f32 v5, v24, s33, v5
	v_cvt_f32_f16_e32 v3, v3
	v_cvt_f16_f32_e32 v5, v5
	v_med3_f32 v24, v20, s37, v1
	v_cvt_f32_f16_e32 v22, v22
	v_cmp_nlg_f32_e64 vcc, |v20|, s36
	v_cvt_f32_f16_e32 v4, v4
	v_cvt_f32_f16_e32 v23, v23
	v_cndmask_b32_e32 v20, v24, v20, vcc
	v_med3_f32 v24, v2, s37, v1
	v_cmp_nlg_f32_e64 vcc, |v2|, s36
	v_cvt_pk_fp8_f32 v12, v20, v20
	v_med3_f32 v20, v21, s37, v1
	v_cndmask_b32_e32 v2, v24, v2, vcc
	v_cmp_nlg_f32_e64 vcc, |v21|, s36
	v_cvt_pk_fp8_f32 v13, v2, v2
	v_cvt_f32_f16_e32 v5, v5
	v_cndmask_b32_e32 v2, v20, v21, vcc
	v_med3_f32 v20, v3, s37, v1
	v_cmp_nlg_f32_e64 vcc, |v3|, s36
	v_cvt_pk_fp8_f32 v14, v2, v2
	s_nop 0
	v_cndmask_b32_e32 v2, v20, v3, vcc
	v_med3_f32 v3, v22, s37, v1
	v_cmp_nlg_f32_e64 vcc, |v22|, s36
	v_cvt_pk_fp8_f32 v15, v2, v2
	s_nop 0
	;; [unrolled: 5-line block ×3, first 2 shown]
	v_cndmask_b32_e32 v2, v3, v4, vcc
	v_med3_f32 v3, v23, s37, v1
	v_cmp_nlg_f32_e64 vcc, |v23|, s36
	v_cvt_pk_fp8_f32 v17, v2, v2
	v_and_b32_e32 v4, 0xff, v12
	v_cndmask_b32_e32 v2, v3, v23, vcc
	v_med3_f32 v3, v5, s37, v1
	v_cmp_nlg_f32_e64 vcc, |v5|, s36
	v_cvt_pk_fp8_f32 v18, v2, v2
	v_lshlrev_b32_e32 v12, 8, v13
	v_cndmask_b32_e32 v2, v3, v5, vcc
	v_cvt_pk_fp8_f32 v19, v2, v2
	v_lshlrev_b32_e32 v3, 16, v14
	v_and_b32_e32 v5, 0xff00, v12
	v_perm_b32 v2, v15, v3, s38
	v_or3_b32 v2, v2, v5, v4
	v_and_b32_e32 v5, 0xff, v18
	v_lshlrev_b32_e32 v12, 24, v19
	v_lshlrev_b32_e32 v5, 16, v5
	v_and_b32_e32 v3, 0xff, v16
	v_lshlrev_b32_sdwa v4, v10, v17 dst_sel:DWORD dst_unused:UNUSED_PAD src0_sel:DWORD src1_sel:BYTE_0
	v_or_b32_e32 v5, v12, v5
	v_or3_b32 v3, v5, v4, v3
	global_store_dwordx2 v[6:7], v[2:3], off
	v_lshl_add_u64 v[6:7], v[6:7], 0, s[20:21]
	s_andn2_b64 exec, exec, s[28:29]
	s_cbranch_execnz .LBB18_62
.LBB18_63:
	s_or_b64 exec, exec, s[16:17]
	v_lshl_add_u32 v2, s34, 3, v0
	v_cmp_gt_i32_e32 vcc, s25, v2
	s_and_saveexec_b64 s[0:1], vcc
	s_cbranch_execz .LBB18_66
; %bb.64:
	s_lshl_b64 s[4:5], s[14:15], 1
	s_add_u32 s2, s30, s4
	s_addc_u32 s5, s31, s5
	s_add_u32 s4, s18, s2
	v_ashrrev_i32_e32 v3, 31, v2
	s_addc_u32 s5, s19, s5
	s_lshl_b32 s2, s24, 1
	v_lshl_add_u64 v[4:5], v[2:3], 1, s[4:5]
	s_add_u32 s4, s14, s67
	s_addc_u32 s5, s15, s66
	s_add_u32 s4, s4, s69
	s_addc_u32 s5, s5, s68
	s_add_u32 s4, s22, s4
	s_addc_u32 s5, s23, s5
	s_mov_b32 s3, 0
	v_lshl_add_u64 v[6:7], s[4:5], 0, v[2:3]
	s_mov_b64 s[4:5], 0
	s_mov_b32 s8, 0x7f800000
	s_mov_b32 s9, 0x43e00000
	v_mov_b32_e32 v1, 0xc3e00000
	s_mov_b64 s[6:7], 0
.LBB18_65:                              ; =>This Inner Loop Header: Depth=1
	global_load_ushort v3, v[4:5], off
	v_lshl_add_u64 v[8:9], v[6:7], 0, s[6:7]
	s_add_u32 s6, s6, s24
	s_addc_u32 s7, s7, 0
	v_lshl_add_u64 v[4:5], v[4:5], 0, s[2:3]
	s_waitcnt vmcnt(0)
	v_cvt_f32_f16_e32 v3, v3
	v_div_scale_f32 v10, s[10:11], s33, s33, v3
	v_rcp_f32_e32 v11, v10
	v_div_scale_f32 v12, vcc, v3, s33, v3
	v_fma_f32 v13, -v10, v11, 1.0
	v_fmac_f32_e32 v11, v13, v11
	v_mul_f32_e32 v13, v12, v11
	v_fma_f32 v14, -v10, v13, v12
	v_fmac_f32_e32 v13, v14, v11
	v_fma_f32 v10, -v10, v13, v12
	v_div_fmas_f32 v10, v10, v11, v13
	v_div_fixup_f32 v3, v10, s33, v3
	v_cvt_f16_f32_e32 v3, v3
	v_mov_b32_e32 v10, 0
	v_cvt_f32_f16_e32 v3, v3
	v_med3_f32 v11, v3, s9, v1
	v_cmp_nlg_f32_e64 vcc, |v3|, s8
	s_nop 1
	v_cndmask_b32_e32 v3, v11, v3, vcc
	v_cvt_pk_fp8_f32 v10, v3, v3
	v_add_u32_e32 v3, s6, v2
	v_cmp_le_i32_e32 vcc, s25, v3
	s_or_b64 s[4:5], vcc, s[4:5]
	global_store_byte v[8:9], v10, off
	s_andn2_b64 exec, exec, s[4:5]
	s_cbranch_execnz .LBB18_65
.LBB18_66:
	s_or_b64 exec, exec, s[0:1]
	s_mov_b64 s[0:1], 0
.LBB18_67:
	s_and_b64 vcc, exec, s[0:1]
	s_cbranch_vccz .LBB18_71
; %bb.68:
	s_ashr_i32 s20, s35, 3
	v_cmp_gt_i32_e32 vcc, s20, v0
	s_and_saveexec_b64 s[0:1], vcc
	s_cbranch_execz .LBB18_71
; %bb.69:
	s_add_u32 s0, s67, s69
	s_addc_u32 s1, s66, s68
	s_add_u32 s0, s22, s0
	v_lshlrev_b32_e32 v2, 3, v0
	v_mov_b32_e32 v3, 0
	s_addc_u32 s1, s23, s1
	s_lshl_b32 s14, s24, 3
	v_lshl_add_u64 v[6:7], s[0:1], 0, v[2:3]
	s_add_u32 s0, s18, s30
	s_mov_b32 s15, 0
	v_lshlrev_b32_e32 v2, 4, v0
	s_addc_u32 s1, s19, s31
	v_lshl_add_u64 v[8:9], s[0:1], 0, v[2:3]
	s_lshl_b32 s16, s24, 4
	s_mov_b32 s17, s15
	s_mov_b64 s[18:19], 0
	s_mov_b32 s21, 0x7f800000
	s_mov_b32 s22, 0x43e00000
	v_mov_b32_e32 v1, 0xc3e00000
	s_mov_b32 s23, 0x4020c0c
	v_mov_b32_e32 v10, 8
.LBB18_70:                              ; =>This Inner Loop Header: Depth=1
	global_load_dwordx4 v[2:5], v[8:9], off
	v_add_u32_e32 v0, s24, v0
	v_cmp_le_i32_e32 vcc, s20, v0
	s_or_b64 s[18:19], vcc, s[18:19]
	v_mov_b32_e32 v11, 0
	v_mov_b32_e32 v12, 0
	;; [unrolled: 1-line block ×8, first 2 shown]
	v_lshl_add_u64 v[8:9], v[8:9], 0, s[16:17]
	s_waitcnt vmcnt(0)
	v_cvt_f32_f16_e32 v19, v2
	v_cvt_f32_f16_sdwa v2, v2 dst_sel:DWORD dst_unused:UNUSED_PAD src0_sel:WORD_1
	v_cvt_f32_f16_e32 v20, v3
	v_cvt_f32_f16_sdwa v3, v3 dst_sel:DWORD dst_unused:UNUSED_PAD src0_sel:WORD_1
	v_cvt_f32_f16_e32 v21, v4
	v_div_scale_f32 v23, s[0:1], s33, s33, v19
	v_cvt_f32_f16_sdwa v4, v4 dst_sel:DWORD dst_unused:UNUSED_PAD src0_sel:WORD_1
	v_div_scale_f32 v25, s[0:1], s33, s33, v2
	v_rcp_f32_e32 v39, v23
	v_cvt_f32_f16_e32 v22, v5
	v_div_scale_f32 v27, s[2:3], s33, s33, v20
	v_rcp_f32_e32 v40, v25
	v_cvt_f32_f16_sdwa v5, v5 dst_sel:DWORD dst_unused:UNUSED_PAD src0_sel:WORD_1
	v_div_scale_f32 v29, s[4:5], s33, s33, v3
	v_rcp_f32_e32 v41, v27
	v_div_scale_f32 v31, s[6:7], s33, s33, v21
	v_rcp_f32_e32 v42, v29
	;; [unrolled: 2-line block ×3, first 2 shown]
	v_fma_f32 v47, -v23, v39, 1.0
	v_div_scale_f32 v24, vcc, v19, s33, v19
	v_div_scale_f32 v35, s[10:11], s33, s33, v22
	v_rcp_f32_e32 v44, v33
	v_fma_f32 v48, -v25, v40, 1.0
	v_fmac_f32_e32 v39, v47, v39
	v_div_scale_f32 v26, s[0:1], v2, s33, v2
	v_div_scale_f32 v37, s[12:13], s33, s33, v5
	v_rcp_f32_e32 v45, v35
	v_fma_f32 v49, -v27, v41, 1.0
	v_fmac_f32_e32 v40, v48, v40
	v_mul_f32_e32 v47, v24, v39
	v_div_scale_f32 v28, s[2:3], v20, s33, v20
	v_rcp_f32_e32 v46, v37
	v_fma_f32 v50, -v29, v42, 1.0
	v_fmac_f32_e32 v41, v49, v41
	v_mul_f32_e32 v48, v26, v40
	v_fma_f32 v55, -v23, v47, v24
	v_div_scale_f32 v30, s[4:5], v3, s33, v3
	v_fma_f32 v51, -v31, v43, 1.0
	v_fmac_f32_e32 v42, v50, v42
	v_mul_f32_e32 v49, v28, v41
	v_fma_f32 v56, -v25, v48, v26
	v_fmac_f32_e32 v47, v55, v39
	v_div_scale_f32 v32, s[6:7], v21, s33, v21
	v_fma_f32 v52, -v33, v44, 1.0
	v_fmac_f32_e32 v43, v51, v43
	v_mul_f32_e32 v50, v30, v42
	v_fma_f32 v57, -v27, v49, v28
	v_fmac_f32_e32 v48, v56, v40
	v_fma_f32 v23, -v23, v47, v24
	v_div_scale_f32 v34, s[8:9], v4, s33, v4
	v_fma_f32 v53, -v35, v45, 1.0
	v_fmac_f32_e32 v44, v52, v44
	v_mul_f32_e32 v51, v32, v43
	v_fma_f32 v58, -v29, v50, v30
	v_fmac_f32_e32 v49, v57, v41
	v_fma_f32 v24, -v25, v48, v26
	v_div_fmas_f32 v23, v23, v39, v47
	s_mov_b64 vcc, s[0:1]
	v_div_scale_f32 v36, s[10:11], v22, s33, v22
	v_fma_f32 v54, -v37, v46, 1.0
	v_fmac_f32_e32 v45, v53, v45
	v_mul_f32_e32 v52, v34, v44
	v_fma_f32 v59, -v31, v51, v32
	v_fmac_f32_e32 v50, v58, v42
	v_fma_f32 v25, -v27, v49, v28
	v_div_fixup_f32 v19, v23, s33, v19
	v_div_fmas_f32 v23, v24, v40, v48
	s_mov_b64 vcc, s[2:3]
	v_div_scale_f32 v38, s[12:13], v5, s33, v5
	v_fmac_f32_e32 v46, v54, v46
	v_mul_f32_e32 v53, v36, v45
	v_fma_f32 v60, -v33, v52, v34
	v_fmac_f32_e32 v51, v59, v43
	v_fma_f32 v26, -v29, v50, v30
	v_cvt_f16_f32_e32 v19, v19
	v_div_fixup_f32 v2, v23, s33, v2
	v_div_fmas_f32 v23, v25, v41, v49
	s_mov_b64 vcc, s[4:5]
	v_mul_f32_e32 v54, v38, v46
	v_fma_f32 v61, -v35, v53, v36
	v_fmac_f32_e32 v52, v60, v44
	v_fma_f32 v27, -v31, v51, v32
	v_cvt_f16_f32_e32 v2, v2
	v_div_fixup_f32 v20, v23, s33, v20
	v_div_fmas_f32 v23, v26, v42, v50
	s_mov_b64 vcc, s[6:7]
	v_fma_f32 v62, -v37, v54, v38
	v_fmac_f32_e32 v53, v61, v45
	v_fma_f32 v28, -v33, v52, v34
	v_cvt_f16_f32_e32 v20, v20
	v_div_fixup_f32 v3, v23, s33, v3
	v_div_fmas_f32 v23, v27, v43, v51
	s_mov_b64 vcc, s[8:9]
	v_fmac_f32_e32 v54, v62, v46
	v_fma_f32 v29, -v35, v53, v36
	v_cvt_f16_f32_e32 v3, v3
	v_div_fixup_f32 v21, v23, s33, v21
	v_div_fmas_f32 v23, v28, v44, v52
	s_mov_b64 vcc, s[10:11]
	v_fma_f32 v30, -v37, v54, v38
	v_cvt_f32_f16_e32 v19, v19
	v_cvt_f16_f32_e32 v21, v21
	v_div_fixup_f32 v4, v23, s33, v4
	v_div_fmas_f32 v23, v29, v45, v53
	s_mov_b64 vcc, s[12:13]
	v_cvt_f32_f16_e32 v2, v2
	v_cvt_f16_f32_e32 v4, v4
	v_div_fixup_f32 v22, v23, s33, v22
	v_div_fmas_f32 v23, v30, v46, v54
	v_cvt_f32_f16_e32 v20, v20
	v_cvt_f16_f32_e32 v22, v22
	v_div_fixup_f32 v5, v23, s33, v5
	v_cvt_f32_f16_e32 v3, v3
	v_cvt_f16_f32_e32 v5, v5
	v_med3_f32 v23, v19, s22, v1
	v_cvt_f32_f16_e32 v21, v21
	v_cmp_nlg_f32_e64 vcc, |v19|, s21
	v_cvt_f32_f16_e32 v4, v4
	v_cvt_f32_f16_e32 v22, v22
	v_cndmask_b32_e32 v19, v23, v19, vcc
	v_med3_f32 v23, v2, s22, v1
	v_cmp_nlg_f32_e64 vcc, |v2|, s21
	v_cvt_pk_fp8_f32 v11, v19, v19
	v_med3_f32 v19, v20, s22, v1
	v_cndmask_b32_e32 v2, v23, v2, vcc
	v_cmp_nlg_f32_e64 vcc, |v20|, s21
	v_cvt_pk_fp8_f32 v12, v2, v2
	v_cvt_f32_f16_e32 v5, v5
	v_cndmask_b32_e32 v2, v19, v20, vcc
	v_med3_f32 v19, v3, s22, v1
	v_cmp_nlg_f32_e64 vcc, |v3|, s21
	v_cvt_pk_fp8_f32 v13, v2, v2
	s_nop 0
	v_cndmask_b32_e32 v2, v19, v3, vcc
	v_med3_f32 v3, v21, s22, v1
	v_cmp_nlg_f32_e64 vcc, |v21|, s21
	v_cvt_pk_fp8_f32 v14, v2, v2
	s_nop 0
	;; [unrolled: 5-line block ×3, first 2 shown]
	v_cndmask_b32_e32 v2, v3, v4, vcc
	v_med3_f32 v3, v22, s22, v1
	v_cmp_nlg_f32_e64 vcc, |v22|, s21
	v_cvt_pk_fp8_f32 v16, v2, v2
	v_and_b32_e32 v4, 0xff, v11
	v_cndmask_b32_e32 v2, v3, v22, vcc
	v_med3_f32 v3, v5, s22, v1
	v_cmp_nlg_f32_e64 vcc, |v5|, s21
	v_cvt_pk_fp8_f32 v17, v2, v2
	v_lshlrev_b32_e32 v11, 8, v12
	v_cndmask_b32_e32 v2, v3, v5, vcc
	v_cvt_pk_fp8_f32 v18, v2, v2
	v_lshlrev_b32_e32 v3, 16, v13
	v_and_b32_e32 v5, 0xff00, v11
	v_perm_b32 v2, v14, v3, s23
	v_or3_b32 v2, v2, v5, v4
	v_and_b32_e32 v5, 0xff, v17
	v_lshlrev_b32_e32 v11, 24, v18
	v_lshlrev_b32_e32 v5, 16, v5
	v_and_b32_e32 v3, 0xff, v15
	v_lshlrev_b32_sdwa v4, v10, v16 dst_sel:DWORD dst_unused:UNUSED_PAD src0_sel:DWORD src1_sel:BYTE_0
	v_or_b32_e32 v5, v11, v5
	v_or3_b32 v3, v5, v4, v3
	global_store_dwordx2 v[6:7], v[2:3], off
	v_lshl_add_u64 v[6:7], v[6:7], 0, s[14:15]
	s_andn2_b64 exec, exec, s[18:19]
	s_cbranch_execnz .LBB18_70
.LBB18_71:
	s_endpgm
.LBB18_72:
                                        ; implicit-def: $sgpr10_sgpr11
	s_branch .LBB18_3
	.section	.rodata,"a",@progbits
	.p2align	6, 0x0
	.amdhsa_kernel _ZN4vllm30reshape_and_cache_flash_kernelIthLNS_18Fp8KVCacheDataTypeE1EEEvPKT_S4_PT0_S6_PKlllllliiiPKfSA_
		.amdhsa_group_segment_fixed_size 0
		.amdhsa_private_segment_fixed_size 0
		.amdhsa_kernarg_size 368
		.amdhsa_user_sgpr_count 2
		.amdhsa_user_sgpr_dispatch_ptr 0
		.amdhsa_user_sgpr_queue_ptr 0
		.amdhsa_user_sgpr_kernarg_segment_ptr 1
		.amdhsa_user_sgpr_dispatch_id 0
		.amdhsa_user_sgpr_kernarg_preload_length 0
		.amdhsa_user_sgpr_kernarg_preload_offset 0
		.amdhsa_user_sgpr_private_segment_size 0
		.amdhsa_uses_dynamic_stack 0
		.amdhsa_enable_private_segment 0
		.amdhsa_system_sgpr_workgroup_id_x 1
		.amdhsa_system_sgpr_workgroup_id_y 0
		.amdhsa_system_sgpr_workgroup_id_z 0
		.amdhsa_system_sgpr_workgroup_info 0
		.amdhsa_system_vgpr_workitem_id 0
		.amdhsa_next_free_vgpr 94
		.amdhsa_next_free_sgpr 76
		.amdhsa_accum_offset 96
		.amdhsa_reserve_vcc 1
		.amdhsa_float_round_mode_32 0
		.amdhsa_float_round_mode_16_64 0
		.amdhsa_float_denorm_mode_32 3
		.amdhsa_float_denorm_mode_16_64 3
		.amdhsa_dx10_clamp 1
		.amdhsa_ieee_mode 1
		.amdhsa_fp16_overflow 0
		.amdhsa_tg_split 0
		.amdhsa_exception_fp_ieee_invalid_op 0
		.amdhsa_exception_fp_denorm_src 0
		.amdhsa_exception_fp_ieee_div_zero 0
		.amdhsa_exception_fp_ieee_overflow 0
		.amdhsa_exception_fp_ieee_underflow 0
		.amdhsa_exception_fp_ieee_inexact 0
		.amdhsa_exception_int_div_zero 0
	.end_amdhsa_kernel
	.section	.text._ZN4vllm30reshape_and_cache_flash_kernelIthLNS_18Fp8KVCacheDataTypeE1EEEvPKT_S4_PT0_S6_PKlllllliiiPKfSA_,"axG",@progbits,_ZN4vllm30reshape_and_cache_flash_kernelIthLNS_18Fp8KVCacheDataTypeE1EEEvPKT_S4_PT0_S6_PKlllllliiiPKfSA_,comdat
.Lfunc_end18:
	.size	_ZN4vllm30reshape_and_cache_flash_kernelIthLNS_18Fp8KVCacheDataTypeE1EEEvPKT_S4_PT0_S6_PKlllllliiiPKfSA_, .Lfunc_end18-_ZN4vllm30reshape_and_cache_flash_kernelIthLNS_18Fp8KVCacheDataTypeE1EEEvPKT_S4_PT0_S6_PKlllllliiiPKfSA_
                                        ; -- End function
	.set _ZN4vllm30reshape_and_cache_flash_kernelIthLNS_18Fp8KVCacheDataTypeE1EEEvPKT_S4_PT0_S6_PKlllllliiiPKfSA_.num_vgpr, 94
	.set _ZN4vllm30reshape_and_cache_flash_kernelIthLNS_18Fp8KVCacheDataTypeE1EEEvPKT_S4_PT0_S6_PKlllllliiiPKfSA_.num_agpr, 0
	.set _ZN4vllm30reshape_and_cache_flash_kernelIthLNS_18Fp8KVCacheDataTypeE1EEEvPKT_S4_PT0_S6_PKlllllliiiPKfSA_.numbered_sgpr, 76
	.set _ZN4vllm30reshape_and_cache_flash_kernelIthLNS_18Fp8KVCacheDataTypeE1EEEvPKT_S4_PT0_S6_PKlllllliiiPKfSA_.num_named_barrier, 0
	.set _ZN4vllm30reshape_and_cache_flash_kernelIthLNS_18Fp8KVCacheDataTypeE1EEEvPKT_S4_PT0_S6_PKlllllliiiPKfSA_.private_seg_size, 0
	.set _ZN4vllm30reshape_and_cache_flash_kernelIthLNS_18Fp8KVCacheDataTypeE1EEEvPKT_S4_PT0_S6_PKlllllliiiPKfSA_.uses_vcc, 1
	.set _ZN4vllm30reshape_and_cache_flash_kernelIthLNS_18Fp8KVCacheDataTypeE1EEEvPKT_S4_PT0_S6_PKlllllliiiPKfSA_.uses_flat_scratch, 0
	.set _ZN4vllm30reshape_and_cache_flash_kernelIthLNS_18Fp8KVCacheDataTypeE1EEEvPKT_S4_PT0_S6_PKlllllliiiPKfSA_.has_dyn_sized_stack, 0
	.set _ZN4vllm30reshape_and_cache_flash_kernelIthLNS_18Fp8KVCacheDataTypeE1EEEvPKT_S4_PT0_S6_PKlllllliiiPKfSA_.has_recursion, 0
	.set _ZN4vllm30reshape_and_cache_flash_kernelIthLNS_18Fp8KVCacheDataTypeE1EEEvPKT_S4_PT0_S6_PKlllllliiiPKfSA_.has_indirect_call, 0
	.section	.AMDGPU.csdata,"",@progbits
; Kernel info:
; codeLenInByte = 13460
; TotalNumSgprs: 82
; NumVgprs: 94
; NumAgprs: 0
; TotalNumVgprs: 94
; ScratchSize: 0
; MemoryBound: 0
; FloatMode: 240
; IeeeMode: 1
; LDSByteSize: 0 bytes/workgroup (compile time only)
; SGPRBlocks: 10
; VGPRBlocks: 11
; NumSGPRsForWavesPerEU: 82
; NumVGPRsForWavesPerEU: 94
; AccumOffset: 96
; Occupancy: 5
; WaveLimiterHint : 1
; COMPUTE_PGM_RSRC2:SCRATCH_EN: 0
; COMPUTE_PGM_RSRC2:USER_SGPR: 2
; COMPUTE_PGM_RSRC2:TRAP_HANDLER: 0
; COMPUTE_PGM_RSRC2:TGID_X_EN: 1
; COMPUTE_PGM_RSRC2:TGID_Y_EN: 0
; COMPUTE_PGM_RSRC2:TGID_Z_EN: 0
; COMPUTE_PGM_RSRC2:TIDIG_COMP_CNT: 0
; COMPUTE_PGM_RSRC3_GFX90A:ACCUM_OFFSET: 23
; COMPUTE_PGM_RSRC3_GFX90A:TG_SPLIT: 0
	.section	.text._ZN4vllm30reshape_and_cache_flash_kernelI14__hip_bfloat16hLNS_18Fp8KVCacheDataTypeE1EEEvPKT_S5_PT0_S7_PKlllllliiiPKfSB_,"axG",@progbits,_ZN4vllm30reshape_and_cache_flash_kernelI14__hip_bfloat16hLNS_18Fp8KVCacheDataTypeE1EEEvPKT_S5_PT0_S7_PKlllllliiiPKfSB_,comdat
	.protected	_ZN4vllm30reshape_and_cache_flash_kernelI14__hip_bfloat16hLNS_18Fp8KVCacheDataTypeE1EEEvPKT_S5_PT0_S7_PKlllllliiiPKfSB_ ; -- Begin function _ZN4vllm30reshape_and_cache_flash_kernelI14__hip_bfloat16hLNS_18Fp8KVCacheDataTypeE1EEEvPKT_S5_PT0_S7_PKlllllliiiPKfSB_
	.globl	_ZN4vllm30reshape_and_cache_flash_kernelI14__hip_bfloat16hLNS_18Fp8KVCacheDataTypeE1EEEvPKT_S5_PT0_S7_PKlllllliiiPKfSB_
	.p2align	8
	.type	_ZN4vllm30reshape_and_cache_flash_kernelI14__hip_bfloat16hLNS_18Fp8KVCacheDataTypeE1EEEvPKT_S5_PT0_S7_PKlllllliiiPKfSB_,@function
_ZN4vllm30reshape_and_cache_flash_kernelI14__hip_bfloat16hLNS_18Fp8KVCacheDataTypeE1EEEvPKT_S5_PT0_S7_PKlllllliiiPKfSB_: ; @_ZN4vllm30reshape_and_cache_flash_kernelI14__hip_bfloat16hLNS_18Fp8KVCacheDataTypeE1EEEvPKT_S5_PT0_S7_PKlllllliiiPKfSB_
; %bb.0:
	s_load_dwordx2 s[4:5], s[0:1], 0x20
	s_mov_b32 s3, 0
	s_lshl_b64 s[6:7], s[2:3], 3
	s_waitcnt lgkmcnt(0)
	s_add_u32 s4, s4, s6
	s_addc_u32 s5, s5, s7
	s_load_dwordx2 s[8:9], s[4:5], 0x0
	s_waitcnt lgkmcnt(0)
	v_cmp_lt_i64_e64 s[4:5], s[8:9], 0
	s_and_b64 vcc, exec, s[4:5]
	s_cbranch_vccnz .LBB19_71
; %bb.1:
	s_load_dwordx4 s[36:39], s[0:1], 0x50
	s_load_dwordx8 s[16:23], s[0:1], 0x0
	s_waitcnt lgkmcnt(0)
	s_ashr_i32 s39, s38, 31
	s_or_b64 s[4:5], s[8:9], s[38:39]
	s_mov_b32 s4, s3
	s_cmp_lg_u64 s[4:5], 0
	s_cbranch_scc0 .LBB19_72
; %bb.2:
	s_ashr_i32 s4, s39, 31
	s_add_u32 s6, s38, s4
	s_mov_b32 s5, s4
	s_addc_u32 s7, s39, s4
	s_xor_b64 s[10:11], s[6:7], s[4:5]
	v_cvt_f32_u32_e32 v1, s10
	v_cvt_f32_u32_e32 v2, s11
	s_sub_u32 s3, 0, s10
	s_subb_u32 s14, 0, s11
	v_fmamk_f32 v1, v2, 0x4f800000, v1
	v_rcp_f32_e32 v1, v1
	s_nop 0
	v_mul_f32_e32 v1, 0x5f7ffffc, v1
	v_mul_f32_e32 v2, 0x2f800000, v1
	v_trunc_f32_e32 v2, v2
	v_fmamk_f32 v1, v2, 0xcf800000, v1
	v_cvt_u32_f32_e32 v2, v2
	v_cvt_u32_f32_e32 v1, v1
	v_readfirstlane_b32 s15, v2
	v_readfirstlane_b32 s12, v1
	s_mul_i32 s13, s3, s15
	s_mul_hi_u32 s25, s3, s12
	s_mul_i32 s24, s14, s12
	s_add_i32 s13, s25, s13
	s_add_i32 s13, s13, s24
	s_mul_i32 s26, s3, s12
	s_mul_i32 s25, s12, s13
	s_mul_hi_u32 s27, s12, s26
	s_mul_hi_u32 s24, s12, s13
	s_add_u32 s25, s27, s25
	s_addc_u32 s24, 0, s24
	s_mul_hi_u32 s28, s15, s26
	s_mul_i32 s26, s15, s26
	s_add_u32 s25, s25, s26
	s_mul_hi_u32 s27, s15, s13
	s_addc_u32 s24, s24, s28
	s_addc_u32 s25, s27, 0
	s_mul_i32 s13, s15, s13
	s_add_u32 s13, s24, s13
	s_addc_u32 s24, 0, s25
	s_add_u32 s25, s12, s13
	s_cselect_b64 s[12:13], -1, 0
	s_cmp_lg_u64 s[12:13], 0
	s_addc_u32 s15, s15, s24
	s_mul_i32 s12, s3, s15
	s_mul_hi_u32 s13, s3, s25
	s_add_i32 s12, s13, s12
	s_mul_i32 s14, s14, s25
	s_add_i32 s12, s12, s14
	s_mul_i32 s3, s3, s25
	s_mul_hi_u32 s14, s15, s3
	s_mul_i32 s24, s15, s3
	s_mul_i32 s27, s25, s12
	s_mul_hi_u32 s3, s25, s3
	s_mul_hi_u32 s26, s25, s12
	s_add_u32 s3, s3, s27
	s_addc_u32 s26, 0, s26
	s_add_u32 s3, s3, s24
	s_mul_hi_u32 s13, s15, s12
	s_addc_u32 s3, s26, s14
	s_addc_u32 s13, s13, 0
	s_mul_i32 s12, s15, s12
	s_add_u32 s3, s3, s12
	s_addc_u32 s14, 0, s13
	s_add_u32 s3, s25, s3
	s_cselect_b64 s[12:13], -1, 0
	s_cmp_lg_u64 s[12:13], 0
	s_addc_u32 s24, s15, s14
	s_ashr_i32 s12, s9, 31
	s_add_u32 s14, s8, s12
	s_mov_b32 s13, s12
	s_addc_u32 s15, s9, s12
	s_xor_b64 s[14:15], s[14:15], s[12:13]
	s_mul_i32 s26, s14, s24
	s_mul_hi_u32 s27, s14, s3
	s_mul_hi_u32 s25, s14, s24
	s_add_u32 s26, s27, s26
	s_addc_u32 s25, 0, s25
	s_mul_hi_u32 s28, s15, s3
	s_mul_i32 s3, s15, s3
	s_add_u32 s3, s26, s3
	s_mul_hi_u32 s27, s15, s24
	s_addc_u32 s3, s25, s28
	s_addc_u32 s25, s27, 0
	s_mul_i32 s24, s15, s24
	s_add_u32 s3, s3, s24
	s_addc_u32 s28, 0, s25
	s_mul_i32 s24, s10, s28
	s_mul_hi_u32 s25, s10, s3
	s_add_i32 s24, s25, s24
	s_mul_i32 s25, s11, s3
	s_add_i32 s29, s24, s25
	s_sub_i32 s26, s15, s29
	s_mul_i32 s24, s10, s3
	s_sub_u32 s14, s14, s24
	s_cselect_b64 s[24:25], -1, 0
	s_cmp_lg_u64 s[24:25], 0
	s_subb_u32 s30, s26, s11
	s_sub_u32 s31, s14, s10
	s_cselect_b64 s[26:27], -1, 0
	s_cmp_lg_u64 s[26:27], 0
	s_subb_u32 s26, s30, 0
	s_cmp_ge_u32 s26, s11
	s_cselect_b32 s27, -1, 0
	s_cmp_ge_u32 s31, s10
	s_cselect_b32 s30, -1, 0
	s_cmp_eq_u32 s26, s11
	s_cselect_b32 s26, s30, s27
	s_add_u32 s27, s3, 1
	s_addc_u32 s30, s28, 0
	s_add_u32 s31, s3, 2
	s_addc_u32 s33, s28, 0
	s_cmp_lg_u32 s26, 0
	s_cselect_b32 s26, s31, s27
	s_cselect_b32 s27, s33, s30
	s_cmp_lg_u64 s[24:25], 0
	s_subb_u32 s15, s15, s29
	s_cmp_ge_u32 s15, s11
	s_cselect_b32 s24, -1, 0
	s_cmp_ge_u32 s14, s10
	s_cselect_b32 s10, -1, 0
	s_cmp_eq_u32 s15, s11
	s_cselect_b32 s10, s10, s24
	s_cmp_lg_u32 s10, 0
	s_cselect_b32 s11, s27, s28
	s_cselect_b32 s10, s26, s3
	s_xor_b64 s[4:5], s[12:13], s[4:5]
	s_xor_b64 s[10:11], s[10:11], s[4:5]
	s_sub_u32 s10, s10, s4
	s_subb_u32 s11, s11, s5
	s_cbranch_execnz .LBB19_4
.LBB19_3:
	v_cvt_f32_u32_e32 v1, s38
	s_sub_i32 s3, 0, s38
	s_mov_b32 s11, 0
	v_rcp_iflag_f32_e32 v1, v1
	s_nop 0
	v_mul_f32_e32 v1, 0x4f7ffffe, v1
	v_cvt_u32_f32_e32 v1, v1
	s_nop 0
	v_readfirstlane_b32 s4, v1
	s_mul_i32 s3, s3, s4
	s_mul_hi_u32 s3, s4, s3
	s_add_i32 s4, s4, s3
	s_mul_hi_u32 s3, s8, s4
	s_mul_i32 s5, s3, s38
	s_sub_i32 s5, s8, s5
	s_add_i32 s4, s3, 1
	s_sub_i32 s6, s5, s38
	s_cmp_ge_u32 s5, s38
	s_cselect_b32 s3, s4, s3
	s_cselect_b32 s5, s6, s5
	s_add_i32 s4, s3, 1
	s_cmp_ge_u32 s5, s38
	s_cselect_b32 s10, s4, s3
.LBB19_4:
	s_mul_i32 s3, s10, s39
	s_mul_hi_u32 s14, s10, s38
	s_load_dwordx8 s[24:31], s[0:1], 0x28
	s_load_dwordx2 s[12:13], s[0:1], 0x48
	s_load_dwordx4 s[4:7], s[0:1], 0x60
	s_add_i32 s3, s14, s3
	s_mul_i32 s14, s11, s38
	s_add_i32 s3, s3, s14
	s_mul_i32 s14, s10, s38
	s_sub_u32 s14, s8, s14
	s_subb_u32 s15, s9, s3
	s_waitcnt lgkmcnt(0)
	s_mul_i32 s3, s31, s2
	s_mul_hi_u32 s8, s30, s2
	s_add_i32 s9, s8, s3
	s_mul_i32 s8, s30, s2
	s_lshl_b64 s[38:39], s[8:9], 1
	s_add_u32 s42, s16, s38
	s_mul_i32 s3, s13, s2
	s_mul_hi_u32 s8, s12, s2
	s_addc_u32 s43, s17, s39
	s_add_i32 s3, s8, s3
	s_mul_i32 s2, s12, s2
	s_lshl_b64 s[30:31], s[2:3], 1
	s_add_u32 s34, s18, s30
	s_mul_i32 s2, s10, s25
	s_mul_hi_u32 s3, s10, s24
	s_addc_u32 s35, s19, s31
	s_add_i32 s2, s3, s2
	s_mul_i32 s3, s11, s24
	s_add_i32 s66, s2, s3
	s_mul_i32 s67, s10, s24
	s_add_u32 s2, s20, s67
	s_mul_i32 s8, s14, s27
	s_mul_hi_u32 s9, s14, s26
	s_addc_u32 s3, s21, s66
	s_add_i32 s8, s9, s8
	s_mul_i32 s15, s15, s26
	s_add_i32 s68, s8, s15
	s_mul_i32 s69, s14, s26
	s_add_u32 s40, s2, s69
	s_addc_u32 s41, s3, s68
	s_add_u32 s2, s22, s67
	s_addc_u32 s3, s23, s66
	s_add_u32 s26, s2, s69
	s_load_dword s2, s[0:1], 0x7c
	s_load_dword s70, s[4:5], 0x0
	;; [unrolled: 1-line block ×3, first 2 shown]
	s_addc_u32 s27, s3, s68
	s_ashr_i32 s1, s37, 31
	s_mov_b32 s0, s37
	s_waitcnt lgkmcnt(0)
	s_and_b32 s24, s2, 0xffff
	s_cmp_lg_u64 s[28:29], s[0:1]
	s_mov_b64 s[0:1], -1
	s_cbranch_scc0 .LBB19_39
; %bb.5:
	v_lshrrev_b32_e32 v1, 5, v0
	v_cmp_gt_i32_e32 vcc, s36, v1
	s_and_saveexec_b64 s[44:45], vcc
	s_cbranch_execz .LBB19_38
; %bb.6:
	s_lshr_b32 s25, s24, 5
	s_and_b32 s0, s37, 7
	s_cmp_eq_u32 s0, 0
	s_cselect_b64 s[2:3], -1, 0
	s_ashr_i32 s71, s37, 3
	s_add_u32 s4, s69, s67
	s_addc_u32 s5, s68, s66
	v_mov_b64_e32 v[2:3], s[4:5]
	v_mad_u64_u32 v[2:3], s[4:5], s28, v1, v[2:3]
	v_mov_b32_e32 v4, v3
	v_mad_u64_u32 v[4:5], s[4:5], s29, v1, v[4:5]
	s_mul_i32 s4, s29, s25
	s_mul_hi_u32 s5, s28, s25
	s_add_i32 s47, s5, s4
	s_add_u32 s48, s16, s38
	v_and_b32_e32 v6, 31, v0
	s_addc_u32 s49, s17, s39
	v_mov_b32_e32 v9, 0
	v_mov_b32_e32 v3, v4
	v_lshlrev_b32_e32 v8, 3, v6
	s_add_u32 s50, s18, s30
	v_lshl_add_u64 v[4:5], v[2:3], 0, v[8:9]
	v_lshlrev_b32_e32 v8, 4, v6
	s_addc_u32 s51, s19, s31
	v_cmp_gt_i32_e64 s[0:1], s71, v6
	v_mov_b32_e32 v7, v9
	v_lshl_add_u64 v[10:11], s[20:21], 0, v[4:5]
	s_mul_i32 s46, s28, s25
	v_lshl_add_u64 v[12:13], s[48:49], 0, v[8:9]
	v_mul_lo_u32 v14, s37, v1
	s_mul_i32 s72, s37, s25
	v_lshl_add_u64 v[16:17], s[20:21], 0, v[2:3]
	v_lshl_add_u64 v[18:19], s[22:23], 0, v[4:5]
	;; [unrolled: 1-line block ×4, first 2 shown]
	s_mov_b64 s[52:53], 0
	s_xor_b64 s[54:55], s[2:3], -1
	s_mov_b32 s73, 0x7f800000
	s_mov_b32 s74, 0x43e00000
	;; [unrolled: 1-line block ×3, first 2 shown]
	s_mov_b64 s[56:57], 0x100
	s_mov_b64 s[58:59], 0x200
	v_lshlrev_b32_e32 v24, 1, v6
	v_mov_b32_e32 v40, 0xc3e00000
	v_mov_b32_e32 v41, 8
	s_branch .LBB19_9
.LBB19_7:                               ;   in Loop: Header=BB19_9 Depth=1
	s_or_b64 exec, exec, s[62:63]
.LBB19_8:                               ;   in Loop: Header=BB19_9 Depth=1
	s_or_b64 exec, exec, s[60:61]
	v_add_u32_e32 v1, s25, v1
	v_cmp_le_i32_e32 vcc, s36, v1
	v_lshl_add_u64 v[10:11], v[10:11], 0, s[46:47]
	v_add_u32_e32 v14, s72, v14
	v_lshl_add_u64 v[16:17], v[16:17], 0, s[46:47]
	v_lshl_add_u64 v[18:19], v[18:19], 0, s[46:47]
	s_or_b64 s[52:53], vcc, s[52:53]
	v_lshl_add_u64 v[22:23], v[22:23], 0, s[46:47]
	s_andn2_b64 exec, exec, s[52:53]
	s_cbranch_execz .LBB19_38
.LBB19_9:                               ; =>This Loop Header: Depth=1
                                        ;     Child Loop BB19_14 Depth 2
                                        ;     Child Loop BB19_17 Depth 2
	;; [unrolled: 1-line block ×6, first 2 shown]
	v_mul_lo_u32 v30, v1, s37
	v_ashrrev_i32_e32 v31, 31, v30
	v_lshl_add_u64 v[2:3], v[30:31], 1, s[42:43]
	v_mad_u64_u32 v[28:29], s[2:3], s28, v1, 0
	v_mov_b32_e32 v4, v29
	v_and_b32_e32 v8, 15, v2
	v_ashrrev_i32_e32 v15, 31, v14
	v_mad_u64_u32 v[4:5], s[2:3], s29, v1, v[4:5]
	v_cmp_ne_u64_e32 vcc, 0, v[8:9]
	v_lshlrev_b64 v[26:27], 1, v[14:15]
	v_mov_b32_e32 v29, v4
	s_or_b64 s[2:3], s[54:55], vcc
	s_and_saveexec_b64 s[4:5], s[2:3]
	s_xor_b64 s[60:61], exec, s[4:5]
	s_cbranch_execz .LBB19_19
; %bb.10:                               ;   in Loop: Header=BB19_9 Depth=1
	v_sub_u32_e32 v4, 0, v2
	v_bfe_u32 v4, v4, 1, 3
	v_min_i32_e32 v32, s37, v4
	v_cmp_lt_i32_e32 vcc, v6, v32
	s_and_saveexec_b64 s[2:3], vcc
	s_cbranch_execz .LBB19_12
; %bb.11:                               ;   in Loop: Header=BB19_9 Depth=1
	v_mov_b32_e32 v25, v9
	v_lshl_add_u64 v[2:3], v[2:3], 0, v[24:25]
	global_load_ushort v2, v[2:3], off
	s_waitcnt vmcnt(0)
	v_lshlrev_b32_e32 v2, 16, v2
	v_div_scale_f32 v3, s[4:5], s70, s70, v2
	v_rcp_f32_e32 v4, v3
	v_div_scale_f32 v5, vcc, v2, s70, v2
	v_fma_f32 v8, -v3, v4, 1.0
	v_fmac_f32_e32 v4, v8, v4
	v_mul_f32_e32 v8, v5, v4
	v_fma_f32 v15, -v3, v8, v5
	v_fmac_f32_e32 v8, v15, v4
	v_fma_f32 v3, -v3, v8, v5
	v_div_fmas_f32 v3, v3, v4, v8
	v_div_fixup_f32 v2, v3, s70, v2
	v_med3_f32 v3, v2, s74, v40
	v_cmp_nlg_f32_e64 vcc, |v2|, s73
	v_mov_b32_e32 v4, v9
	s_nop 0
	v_cndmask_b32_e32 v2, v3, v2, vcc
	v_cvt_pk_fp8_f32 v4, v2, v2
	v_lshl_add_u64 v[2:3], s[40:41], 0, v[28:29]
	v_lshl_add_u64 v[2:3], v[2:3], 0, v[6:7]
	global_store_byte v[2:3], v4, off
.LBB19_12:                              ;   in Loop: Header=BB19_9 Depth=1
	s_or_b64 exec, exec, s[2:3]
	v_sub_u32_e32 v8, s37, v32
	v_ashrrev_i32_e32 v2, 31, v8
	v_lshrrev_b32_e32 v2, 29, v2
	v_add_u32_e32 v2, v8, v2
	v_ashrrev_i32_e32 v33, 31, v32
	v_ashrrev_i32_e32 v15, 3, v2
	v_cmp_lt_i32_e32 vcc, v6, v15
	v_lshl_add_u64 v[34:35], v[32:33], 1, v[26:27]
	s_and_saveexec_b64 s[62:63], vcc
	s_cbranch_execz .LBB19_15
; %bb.13:                               ;   in Loop: Header=BB19_9 Depth=1
	v_lshl_add_u64 v[36:37], v[10:11], 0, v[32:33]
	v_lshl_add_u64 v[38:39], v[12:13], 0, v[34:35]
	s_mov_b64 s[64:65], 0
	v_mov_b32_e32 v25, v6
.LBB19_14:                              ;   Parent Loop BB19_9 Depth=1
                                        ; =>  This Inner Loop Header: Depth=2
	global_load_dwordx4 v[2:5], v[38:39], off
	v_add_u32_e32 v25, 32, v25
	v_cmp_ge_i32_e32 vcc, v25, v15
	s_or_b64 s[64:65], vcc, s[64:65]
	v_mov_b32_e32 v42, 0
	v_mov_b32_e32 v43, 0
	;; [unrolled: 1-line block ×8, first 2 shown]
	v_lshl_add_u64 v[38:39], v[38:39], 0, s[58:59]
	s_waitcnt vmcnt(0)
	v_lshlrev_b32_e32 v50, 16, v2
	v_and_b32_e32 v2, 0xffff0000, v2
	v_div_scale_f32 v54, s[2:3], s70, s70, v50
	v_lshlrev_b32_e32 v51, 16, v3
	v_div_scale_f32 v56, s[2:3], s70, s70, v2
	v_rcp_f32_e32 v70, v54
	v_div_scale_f32 v58, s[4:5], s70, s70, v51
	v_rcp_f32_e32 v71, v56
	v_and_b32_e32 v3, 0xffff0000, v3
	v_rcp_f32_e32 v72, v58
	v_lshlrev_b32_e32 v52, 16, v4
	v_div_scale_f32 v60, s[6:7], s70, s70, v3
	v_and_b32_e32 v4, 0xffff0000, v4
	v_div_scale_f32 v62, s[8:9], s70, s70, v52
	v_rcp_f32_e32 v73, v60
	v_fma_f32 v78, -v54, v70, 1.0
	v_lshlrev_b32_e32 v53, 16, v5
	v_div_scale_f32 v55, vcc, v50, s70, v50
	v_div_scale_f32 v64, s[10:11], s70, s70, v4
	v_rcp_f32_e32 v74, v62
	v_fma_f32 v79, -v56, v71, 1.0
	v_fmac_f32_e32 v70, v78, v70
	v_and_b32_e32 v5, 0xffff0000, v5
	v_div_scale_f32 v57, s[2:3], v2, s70, v2
	v_div_scale_f32 v66, s[12:13], s70, s70, v53
	v_rcp_f32_e32 v75, v64
	v_fma_f32 v80, -v58, v72, 1.0
	v_fmac_f32_e32 v71, v79, v71
	v_mul_f32_e32 v78, v55, v70
	v_div_scale_f32 v59, s[4:5], v51, s70, v51
	v_div_scale_f32 v68, s[14:15], s70, s70, v5
	v_rcp_f32_e32 v76, v66
	v_fmac_f32_e32 v72, v80, v72
	v_mul_f32_e32 v79, v57, v71
	v_fma_f32 v86, -v54, v78, v55
	v_rcp_f32_e32 v77, v68
	v_fma_f32 v81, -v60, v73, 1.0
	v_mul_f32_e32 v80, v59, v72
	v_fma_f32 v87, -v56, v79, v57
	v_fmac_f32_e32 v78, v86, v70
	v_div_scale_f32 v61, s[6:7], v3, s70, v3
	v_fma_f32 v82, -v62, v74, 1.0
	v_fmac_f32_e32 v73, v81, v73
	v_fma_f32 v88, -v58, v80, v59
	v_fmac_f32_e32 v79, v87, v71
	v_fma_f32 v54, -v54, v78, v55
	v_div_scale_f32 v63, s[8:9], v52, s70, v52
	v_fma_f32 v83, -v64, v75, 1.0
	v_fmac_f32_e32 v74, v82, v74
	v_mul_f32_e32 v81, v61, v73
	v_fmac_f32_e32 v80, v88, v72
	v_fma_f32 v55, -v56, v79, v57
	v_div_fmas_f32 v54, v54, v70, v78
	s_mov_b64 vcc, s[2:3]
	v_div_scale_f32 v65, s[10:11], v4, s70, v4
	v_fma_f32 v84, -v66, v76, 1.0
	v_fmac_f32_e32 v75, v83, v75
	v_mul_f32_e32 v82, v63, v74
	v_fma_f32 v89, -v60, v81, v61
	v_fma_f32 v56, -v58, v80, v59
	v_div_fixup_f32 v50, v54, s70, v50
	v_div_fmas_f32 v54, v55, v71, v79
	s_mov_b64 vcc, s[4:5]
	v_div_scale_f32 v67, s[12:13], v53, s70, v53
	v_fma_f32 v85, -v68, v77, 1.0
	v_fmac_f32_e32 v76, v84, v76
	v_mul_f32_e32 v83, v65, v75
	v_fma_f32 v90, -v62, v82, v63
	v_fmac_f32_e32 v81, v89, v73
	v_med3_f32 v55, v50, s74, v40
	v_div_fixup_f32 v2, v54, s70, v2
	v_div_fmas_f32 v54, v56, v72, v80
	v_cmp_nlg_f32_e64 vcc, |v50|, s73
	v_div_scale_f32 v69, s[14:15], v5, s70, v5
	v_fmac_f32_e32 v77, v85, v77
	v_mul_f32_e32 v84, v67, v76
	v_fma_f32 v91, -v64, v83, v65
	v_fmac_f32_e32 v82, v90, v74
	v_fma_f32 v57, -v60, v81, v61
	v_cndmask_b32_e32 v50, v55, v50, vcc
	s_mov_b64 vcc, s[6:7]
	v_mul_f32_e32 v85, v69, v77
	v_fma_f32 v92, -v66, v84, v67
	v_fmac_f32_e32 v83, v91, v75
	v_fma_f32 v58, -v62, v82, v63
	v_med3_f32 v55, v2, s74, v40
	v_cmp_nlg_f32_e64 s[2:3], |v2|, s73
	v_div_fixup_f32 v51, v54, s70, v51
	v_div_fmas_f32 v54, v57, v73, v81
	s_mov_b64 vcc, s[8:9]
	v_fma_f32 v93, -v68, v85, v69
	v_fmac_f32_e32 v84, v92, v76
	v_fma_f32 v59, -v64, v83, v65
	v_cvt_pk_fp8_f32 v42, v50, v50
	v_cndmask_b32_e64 v2, v55, v2, s[2:3]
	v_med3_f32 v50, v51, s74, v40
	v_cmp_nlg_f32_e64 s[2:3], |v51|, s73
	v_div_fixup_f32 v3, v54, s70, v3
	v_div_fmas_f32 v54, v58, v74, v82
	s_mov_b64 vcc, s[10:11]
	v_fmac_f32_e32 v85, v93, v77
	v_fma_f32 v60, -v66, v84, v67
	v_cvt_pk_fp8_f32 v43, v2, v2
	v_cndmask_b32_e64 v2, v50, v51, s[2:3]
	v_med3_f32 v50, v3, s74, v40
	v_cmp_nlg_f32_e64 s[2:3], |v3|, s73
	v_div_fixup_f32 v51, v54, s70, v52
	v_div_fmas_f32 v52, v59, v75, v83
	s_mov_b64 vcc, s[12:13]
	v_fma_f32 v61, -v68, v85, v69
	v_cvt_pk_fp8_f32 v44, v2, v2
	v_cndmask_b32_e64 v2, v50, v3, s[2:3]
	v_med3_f32 v3, v51, s74, v40
	v_cmp_nlg_f32_e64 s[2:3], |v51|, s73
	v_div_fixup_f32 v4, v52, s70, v4
	v_div_fmas_f32 v50, v60, v76, v84
	s_mov_b64 vcc, s[14:15]
	v_cvt_pk_fp8_f32 v45, v2, v2
	v_cndmask_b32_e64 v2, v3, v51, s[2:3]
	v_med3_f32 v3, v4, s74, v40
	v_cmp_nlg_f32_e64 s[2:3], |v4|, s73
	v_div_fixup_f32 v50, v50, s70, v53
	v_div_fmas_f32 v51, v61, v77, v85
	v_cvt_pk_fp8_f32 v46, v2, v2
	v_cndmask_b32_e64 v2, v3, v4, s[2:3]
	v_med3_f32 v3, v50, s74, v40
	v_cmp_nlg_f32_e64 vcc, |v50|, s73
	v_div_fixup_f32 v4, v51, s70, v5
	v_cvt_pk_fp8_f32 v47, v2, v2
	v_cndmask_b32_e32 v2, v3, v50, vcc
	v_med3_f32 v3, v4, s74, v40
	v_cmp_nlg_f32_e64 vcc, |v4|, s73
	v_cvt_pk_fp8_f32 v48, v2, v2
	v_and_b32_e32 v5, 0xff, v42
	v_cndmask_b32_e32 v2, v3, v4, vcc
	v_cvt_pk_fp8_f32 v49, v2, v2
	v_lshlrev_b32_e32 v42, 8, v43
	v_lshlrev_b32_e32 v3, 16, v44
	v_and_b32_e32 v4, 0xff00, v42
	v_perm_b32 v2, v45, v3, s75
	v_or3_b32 v2, v2, v4, v5
	v_and_b32_e32 v5, 0xff, v48
	v_lshlrev_b32_e32 v42, 24, v49
	v_lshlrev_b32_e32 v5, 16, v5
	v_and_b32_e32 v3, 0xff, v46
	v_lshlrev_b32_sdwa v4, v41, v47 dst_sel:DWORD dst_unused:UNUSED_PAD src0_sel:DWORD src1_sel:BYTE_0
	v_or_b32_e32 v5, v42, v5
	v_or3_b32 v3, v5, v4, v3
	global_store_dwordx2 v[36:37], v[2:3], off
	v_lshl_add_u64 v[36:37], v[36:37], 0, s[56:57]
	s_andn2_b64 exec, exec, s[64:65]
	s_cbranch_execnz .LBB19_14
.LBB19_15:                              ;   in Loop: Header=BB19_9 Depth=1
	s_or_b64 exec, exec, s[62:63]
	v_lshl_add_u32 v2, v15, 3, v6
	v_cmp_lt_i32_e32 vcc, v2, v8
	s_and_saveexec_b64 s[2:3], vcc
	s_cbranch_execz .LBB19_18
; %bb.16:                               ;   in Loop: Header=BB19_9 Depth=1
	v_ashrrev_i32_e32 v3, 31, v2
	v_lshl_add_u64 v[4:5], v[2:3], 1, v[34:35]
	v_lshl_add_u64 v[32:33], v[32:33], 0, v[2:3]
	v_lshl_add_u64 v[4:5], s[48:49], 0, v[4:5]
	v_lshl_add_u64 v[32:33], v[16:17], 0, v[32:33]
	s_mov_b64 s[4:5], 0
.LBB19_17:                              ;   Parent Loop BB19_9 Depth=1
                                        ; =>  This Inner Loop Header: Depth=2
	global_load_ushort v3, v[4:5], off
	v_mov_b32_e32 v15, 0
	v_add_u32_e32 v2, 32, v2
	v_lshl_add_u64 v[4:5], v[4:5], 0, 64
	s_waitcnt vmcnt(0)
	v_lshlrev_b32_e32 v3, 16, v3
	v_div_scale_f32 v25, s[6:7], s70, s70, v3
	v_rcp_f32_e32 v35, v25
	v_div_scale_f32 v34, vcc, v3, s70, v3
	v_fma_f32 v36, -v25, v35, 1.0
	v_fmac_f32_e32 v35, v36, v35
	v_mul_f32_e32 v36, v34, v35
	v_fma_f32 v37, -v25, v36, v34
	v_fmac_f32_e32 v36, v37, v35
	v_fma_f32 v25, -v25, v36, v34
	v_div_fmas_f32 v25, v25, v35, v36
	v_div_fixup_f32 v3, v25, s70, v3
	v_med3_f32 v25, v3, s74, v40
	v_cmp_nlg_f32_e64 vcc, |v3|, s73
	s_nop 1
	v_cndmask_b32_e32 v3, v25, v3, vcc
	v_cvt_pk_fp8_f32 v15, v3, v3
	v_cmp_ge_i32_e32 vcc, v2, v8
	s_or_b64 s[4:5], vcc, s[4:5]
	global_store_byte v[32:33], v15, off
	v_lshl_add_u64 v[32:33], v[32:33], 0, 32
	s_andn2_b64 exec, exec, s[4:5]
	s_cbranch_execnz .LBB19_17
.LBB19_18:                              ;   in Loop: Header=BB19_9 Depth=1
	s_or_b64 exec, exec, s[2:3]
.LBB19_19:                              ;   in Loop: Header=BB19_9 Depth=1
	s_andn2_saveexec_b64 s[60:61], s[60:61]
	s_cbranch_execz .LBB19_24
; %bb.20:                               ;   in Loop: Header=BB19_9 Depth=1
	s_and_saveexec_b64 s[62:63], s[0:1]
	s_cbranch_execz .LBB19_23
; %bb.21:                               ;   in Loop: Header=BB19_9 Depth=1
	v_lshl_add_u64 v[32:33], v[12:13], 0, v[26:27]
	s_mov_b64 s[64:65], 0
	v_mov_b64_e32 v[34:35], v[10:11]
	v_mov_b32_e32 v8, v6
.LBB19_22:                              ;   Parent Loop BB19_9 Depth=1
                                        ; =>  This Inner Loop Header: Depth=2
	global_load_dwordx4 v[2:5], v[32:33], off
	v_add_u32_e32 v8, 32, v8
	v_cmp_le_i32_e32 vcc, s71, v8
	s_or_b64 s[64:65], vcc, s[64:65]
	v_mov_b32_e32 v15, 0
	v_mov_b32_e32 v25, 0
	;; [unrolled: 1-line block ×8, first 2 shown]
	v_lshl_add_u64 v[32:33], v[32:33], 0, s[58:59]
	s_waitcnt vmcnt(0)
	v_lshlrev_b32_e32 v44, 16, v2
	v_and_b32_e32 v2, 0xffff0000, v2
	v_div_scale_f32 v48, s[2:3], s70, s70, v44
	v_lshlrev_b32_e32 v45, 16, v3
	v_div_scale_f32 v50, s[2:3], s70, s70, v2
	v_rcp_f32_e32 v64, v48
	v_div_scale_f32 v52, s[2:3], s70, s70, v45
	v_rcp_f32_e32 v65, v50
	v_and_b32_e32 v3, 0xffff0000, v3
	v_rcp_f32_e32 v66, v52
	v_lshlrev_b32_e32 v46, 16, v4
	v_div_scale_f32 v54, s[2:3], s70, s70, v3
	v_and_b32_e32 v4, 0xffff0000, v4
	v_div_scale_f32 v56, s[2:3], s70, s70, v46
	v_rcp_f32_e32 v67, v54
	v_fma_f32 v72, -v48, v64, 1.0
	v_lshlrev_b32_e32 v47, 16, v5
	v_div_scale_f32 v49, vcc, v44, s70, v44
	v_div_scale_f32 v58, s[2:3], s70, s70, v4
	v_rcp_f32_e32 v68, v56
	v_fma_f32 v73, -v50, v65, 1.0
	v_fmac_f32_e32 v64, v72, v64
	v_and_b32_e32 v5, 0xffff0000, v5
	v_div_scale_f32 v51, s[4:5], v2, s70, v2
	v_div_scale_f32 v60, s[2:3], s70, s70, v47
	v_rcp_f32_e32 v69, v58
	v_fma_f32 v74, -v52, v66, 1.0
	v_fmac_f32_e32 v65, v73, v65
	v_mul_f32_e32 v72, v49, v64
	v_div_scale_f32 v53, s[6:7], v45, s70, v45
	v_div_scale_f32 v62, s[2:3], s70, s70, v5
	v_rcp_f32_e32 v70, v60
	v_fmac_f32_e32 v66, v74, v66
	v_mul_f32_e32 v73, v51, v65
	v_fma_f32 v80, -v48, v72, v49
	v_rcp_f32_e32 v71, v62
	v_fma_f32 v75, -v54, v67, 1.0
	v_mul_f32_e32 v74, v53, v66
	v_fma_f32 v81, -v50, v73, v51
	v_fmac_f32_e32 v72, v80, v64
	v_div_scale_f32 v55, s[8:9], v3, s70, v3
	v_fma_f32 v76, -v56, v68, 1.0
	v_fmac_f32_e32 v67, v75, v67
	v_fma_f32 v82, -v52, v74, v53
	v_fmac_f32_e32 v73, v81, v65
	v_fma_f32 v48, -v48, v72, v49
	v_div_scale_f32 v57, s[10:11], v46, s70, v46
	v_fma_f32 v77, -v58, v69, 1.0
	v_fmac_f32_e32 v68, v76, v68
	v_mul_f32_e32 v75, v55, v67
	v_fmac_f32_e32 v74, v82, v66
	v_fma_f32 v49, -v50, v73, v51
	v_div_fmas_f32 v48, v48, v64, v72
	s_mov_b64 vcc, s[4:5]
	v_div_scale_f32 v59, s[12:13], v4, s70, v4
	v_fma_f32 v78, -v60, v70, 1.0
	v_fmac_f32_e32 v69, v77, v69
	v_mul_f32_e32 v76, v57, v68
	v_fma_f32 v83, -v54, v75, v55
	v_fma_f32 v50, -v52, v74, v53
	v_div_fixup_f32 v44, v48, s70, v44
	v_div_fmas_f32 v48, v49, v65, v73
	s_mov_b64 vcc, s[6:7]
	v_div_scale_f32 v61, s[14:15], v47, s70, v47
	v_fma_f32 v79, -v62, v71, 1.0
	v_fmac_f32_e32 v70, v78, v70
	v_mul_f32_e32 v77, v59, v69
	v_fma_f32 v84, -v56, v76, v57
	v_fmac_f32_e32 v75, v83, v67
	v_med3_f32 v49, v44, s74, v40
	v_div_fixup_f32 v2, v48, s70, v2
	v_div_fmas_f32 v48, v50, v66, v74
	v_cmp_nlg_f32_e64 vcc, |v44|, s73
	v_div_scale_f32 v63, s[2:3], v5, s70, v5
	v_fmac_f32_e32 v71, v79, v71
	v_mul_f32_e32 v78, v61, v70
	v_fma_f32 v85, -v58, v77, v59
	v_fmac_f32_e32 v76, v84, v68
	v_fma_f32 v51, -v54, v75, v55
	v_cndmask_b32_e32 v44, v49, v44, vcc
	s_mov_b64 vcc, s[8:9]
	v_mul_f32_e32 v79, v63, v71
	v_fma_f32 v86, -v60, v78, v61
	v_fmac_f32_e32 v77, v85, v69
	v_fma_f32 v52, -v56, v76, v57
	v_med3_f32 v49, v2, s74, v40
	v_cmp_nlg_f32_e64 s[4:5], |v2|, s73
	v_div_fixup_f32 v45, v48, s70, v45
	v_div_fmas_f32 v48, v51, v67, v75
	s_mov_b64 vcc, s[10:11]
	v_fma_f32 v87, -v62, v79, v63
	v_fmac_f32_e32 v78, v86, v70
	v_fma_f32 v53, -v58, v77, v59
	v_cvt_pk_fp8_f32 v15, v44, v44
	v_cndmask_b32_e64 v2, v49, v2, s[4:5]
	v_med3_f32 v44, v45, s74, v40
	v_cmp_nlg_f32_e64 s[4:5], |v45|, s73
	v_div_fixup_f32 v3, v48, s70, v3
	v_div_fmas_f32 v48, v52, v68, v76
	s_mov_b64 vcc, s[12:13]
	v_fmac_f32_e32 v79, v87, v71
	v_fma_f32 v54, -v60, v78, v61
	v_cvt_pk_fp8_f32 v25, v2, v2
	v_cndmask_b32_e64 v2, v44, v45, s[4:5]
	v_med3_f32 v44, v3, s74, v40
	v_cmp_nlg_f32_e64 s[4:5], |v3|, s73
	v_div_fixup_f32 v45, v48, s70, v46
	v_div_fmas_f32 v46, v53, v69, v77
	s_mov_b64 vcc, s[14:15]
	v_fma_f32 v55, -v62, v79, v63
	v_cvt_pk_fp8_f32 v36, v2, v2
	v_cndmask_b32_e64 v2, v44, v3, s[4:5]
	v_med3_f32 v3, v45, s74, v40
	v_cmp_nlg_f32_e64 s[4:5], |v45|, s73
	v_div_fixup_f32 v4, v46, s70, v4
	v_div_fmas_f32 v44, v54, v70, v78
	s_mov_b64 vcc, s[2:3]
	v_cvt_pk_fp8_f32 v37, v2, v2
	v_cndmask_b32_e64 v2, v3, v45, s[4:5]
	v_med3_f32 v3, v4, s74, v40
	v_cmp_nlg_f32_e64 s[4:5], |v4|, s73
	v_div_fixup_f32 v44, v44, s70, v47
	v_div_fmas_f32 v45, v55, v71, v79
	v_cvt_pk_fp8_f32 v38, v2, v2
	v_cndmask_b32_e64 v2, v3, v4, s[4:5]
	v_med3_f32 v3, v44, s74, v40
	v_cmp_nlg_f32_e64 vcc, |v44|, s73
	v_div_fixup_f32 v4, v45, s70, v5
	v_cvt_pk_fp8_f32 v39, v2, v2
	v_cndmask_b32_e32 v2, v3, v44, vcc
	v_med3_f32 v3, v4, s74, v40
	v_cmp_nlg_f32_e64 vcc, |v4|, s73
	v_cvt_pk_fp8_f32 v42, v2, v2
	v_and_b32_e32 v5, 0xff, v15
	v_cndmask_b32_e32 v2, v3, v4, vcc
	v_cvt_pk_fp8_f32 v43, v2, v2
	v_lshlrev_b32_e32 v15, 8, v25
	v_lshlrev_b32_e32 v3, 16, v36
	v_and_b32_e32 v4, 0xff00, v15
	v_perm_b32 v2, v37, v3, s75
	v_or3_b32 v2, v2, v4, v5
	v_and_b32_e32 v5, 0xff, v42
	v_lshlrev_b32_e32 v15, 24, v43
	v_lshlrev_b32_e32 v5, 16, v5
	v_and_b32_e32 v3, 0xff, v38
	v_lshlrev_b32_sdwa v4, v41, v39 dst_sel:DWORD dst_unused:UNUSED_PAD src0_sel:DWORD src1_sel:BYTE_0
	v_or_b32_e32 v5, v15, v5
	v_or3_b32 v3, v5, v4, v3
	global_store_dwordx2 v[34:35], v[2:3], off
	v_lshl_add_u64 v[34:35], v[34:35], 0, s[56:57]
	s_andn2_b64 exec, exec, s[64:65]
	s_cbranch_execnz .LBB19_22
.LBB19_23:                              ;   in Loop: Header=BB19_9 Depth=1
	s_or_b64 exec, exec, s[62:63]
.LBB19_24:                              ;   in Loop: Header=BB19_9 Depth=1
	s_or_b64 exec, exec, s[60:61]
	v_lshl_add_u64 v[2:3], v[30:31], 1, s[34:35]
	v_and_b32_e32 v8, 15, v2
	v_cmp_ne_u64_e32 vcc, 0, v[8:9]
	s_or_b64 s[2:3], s[54:55], vcc
	s_and_saveexec_b64 s[4:5], s[2:3]
	s_xor_b64 s[60:61], exec, s[4:5]
	s_cbranch_execz .LBB19_34
; %bb.25:                               ;   in Loop: Header=BB19_9 Depth=1
	v_sub_u32_e32 v4, 0, v2
	v_bfe_u32 v4, v4, 1, 3
	v_min_i32_e32 v30, s37, v4
	v_cmp_lt_i32_e32 vcc, v6, v30
	s_and_saveexec_b64 s[2:3], vcc
	s_cbranch_execz .LBB19_27
; %bb.26:                               ;   in Loop: Header=BB19_9 Depth=1
	v_mov_b32_e32 v25, v9
	v_lshl_add_u64 v[2:3], v[2:3], 0, v[24:25]
	global_load_ushort v2, v[2:3], off
	s_waitcnt vmcnt(0)
	v_lshlrev_b32_e32 v2, 16, v2
	v_div_scale_f32 v3, s[4:5], s33, s33, v2
	v_rcp_f32_e32 v4, v3
	v_div_scale_f32 v5, vcc, v2, s33, v2
	v_fma_f32 v8, -v3, v4, 1.0
	v_fmac_f32_e32 v4, v8, v4
	v_mul_f32_e32 v8, v5, v4
	v_fma_f32 v15, -v3, v8, v5
	v_fmac_f32_e32 v8, v15, v4
	v_fma_f32 v3, -v3, v8, v5
	v_div_fmas_f32 v3, v3, v4, v8
	v_div_fixup_f32 v2, v3, s33, v2
	v_med3_f32 v3, v2, s74, v40
	v_cmp_nlg_f32_e64 vcc, |v2|, s73
	v_mov_b32_e32 v4, v9
	s_nop 0
	v_cndmask_b32_e32 v2, v3, v2, vcc
	v_cvt_pk_fp8_f32 v4, v2, v2
	v_lshl_add_u64 v[2:3], s[26:27], 0, v[28:29]
	v_lshl_add_u64 v[2:3], v[2:3], 0, v[6:7]
	global_store_byte v[2:3], v4, off
.LBB19_27:                              ;   in Loop: Header=BB19_9 Depth=1
	s_or_b64 exec, exec, s[2:3]
	v_sub_u32_e32 v8, s37, v30
	v_ashrrev_i32_e32 v2, 31, v8
	v_lshrrev_b32_e32 v2, 29, v2
	v_add_u32_e32 v2, v8, v2
	v_ashrrev_i32_e32 v31, 31, v30
	v_ashrrev_i32_e32 v15, 3, v2
	v_cmp_lt_i32_e32 vcc, v6, v15
	v_lshl_add_u64 v[26:27], v[30:31], 1, v[26:27]
	s_and_saveexec_b64 s[62:63], vcc
	s_cbranch_execz .LBB19_30
; %bb.28:                               ;   in Loop: Header=BB19_9 Depth=1
	v_lshl_add_u64 v[28:29], v[18:19], 0, v[30:31]
	v_lshl_add_u64 v[32:33], v[20:21], 0, v[26:27]
	s_mov_b64 s[64:65], 0
	v_mov_b32_e32 v25, v6
.LBB19_29:                              ;   Parent Loop BB19_9 Depth=1
                                        ; =>  This Inner Loop Header: Depth=2
	global_load_dwordx4 v[2:5], v[32:33], off
	v_add_u32_e32 v25, 32, v25
	v_cmp_ge_i32_e32 vcc, v25, v15
	s_or_b64 s[64:65], vcc, s[64:65]
	v_mov_b32_e32 v34, 0
	v_mov_b32_e32 v35, 0
	;; [unrolled: 1-line block ×8, first 2 shown]
	v_lshl_add_u64 v[32:33], v[32:33], 0, s[58:59]
	s_waitcnt vmcnt(0)
	v_lshlrev_b32_e32 v44, 16, v2
	v_and_b32_e32 v2, 0xffff0000, v2
	v_div_scale_f32 v48, s[2:3], s33, s33, v44
	v_lshlrev_b32_e32 v45, 16, v3
	v_div_scale_f32 v50, s[2:3], s33, s33, v2
	v_rcp_f32_e32 v64, v48
	v_div_scale_f32 v52, s[4:5], s33, s33, v45
	v_rcp_f32_e32 v65, v50
	v_and_b32_e32 v3, 0xffff0000, v3
	v_rcp_f32_e32 v66, v52
	v_lshlrev_b32_e32 v46, 16, v4
	v_div_scale_f32 v54, s[6:7], s33, s33, v3
	v_and_b32_e32 v4, 0xffff0000, v4
	v_div_scale_f32 v56, s[8:9], s33, s33, v46
	v_rcp_f32_e32 v67, v54
	v_fma_f32 v72, -v48, v64, 1.0
	v_lshlrev_b32_e32 v47, 16, v5
	v_div_scale_f32 v49, vcc, v44, s33, v44
	v_div_scale_f32 v58, s[10:11], s33, s33, v4
	v_rcp_f32_e32 v68, v56
	v_fma_f32 v73, -v50, v65, 1.0
	v_fmac_f32_e32 v64, v72, v64
	v_and_b32_e32 v5, 0xffff0000, v5
	v_div_scale_f32 v51, s[2:3], v2, s33, v2
	v_div_scale_f32 v60, s[12:13], s33, s33, v47
	v_rcp_f32_e32 v69, v58
	v_fma_f32 v74, -v52, v66, 1.0
	v_fmac_f32_e32 v65, v73, v65
	v_mul_f32_e32 v72, v49, v64
	v_div_scale_f32 v53, s[4:5], v45, s33, v45
	v_div_scale_f32 v62, s[14:15], s33, s33, v5
	v_rcp_f32_e32 v70, v60
	v_fmac_f32_e32 v66, v74, v66
	v_mul_f32_e32 v73, v51, v65
	v_fma_f32 v80, -v48, v72, v49
	v_rcp_f32_e32 v71, v62
	v_fma_f32 v75, -v54, v67, 1.0
	v_mul_f32_e32 v74, v53, v66
	v_fma_f32 v81, -v50, v73, v51
	v_fmac_f32_e32 v72, v80, v64
	v_div_scale_f32 v55, s[6:7], v3, s33, v3
	v_fma_f32 v76, -v56, v68, 1.0
	v_fmac_f32_e32 v67, v75, v67
	v_fma_f32 v82, -v52, v74, v53
	v_fmac_f32_e32 v73, v81, v65
	v_fma_f32 v48, -v48, v72, v49
	v_div_scale_f32 v57, s[8:9], v46, s33, v46
	v_fma_f32 v77, -v58, v69, 1.0
	v_fmac_f32_e32 v68, v76, v68
	v_mul_f32_e32 v75, v55, v67
	v_fmac_f32_e32 v74, v82, v66
	v_fma_f32 v49, -v50, v73, v51
	v_div_fmas_f32 v48, v48, v64, v72
	s_mov_b64 vcc, s[2:3]
	v_div_scale_f32 v59, s[10:11], v4, s33, v4
	v_fma_f32 v78, -v60, v70, 1.0
	v_fmac_f32_e32 v69, v77, v69
	v_mul_f32_e32 v76, v57, v68
	v_fma_f32 v83, -v54, v75, v55
	v_fma_f32 v50, -v52, v74, v53
	v_div_fixup_f32 v44, v48, s33, v44
	v_div_fmas_f32 v48, v49, v65, v73
	s_mov_b64 vcc, s[4:5]
	v_div_scale_f32 v61, s[12:13], v47, s33, v47
	v_fma_f32 v79, -v62, v71, 1.0
	v_fmac_f32_e32 v70, v78, v70
	v_mul_f32_e32 v77, v59, v69
	v_fma_f32 v84, -v56, v76, v57
	v_fmac_f32_e32 v75, v83, v67
	v_med3_f32 v49, v44, s74, v40
	v_div_fixup_f32 v2, v48, s33, v2
	v_div_fmas_f32 v48, v50, v66, v74
	v_cmp_nlg_f32_e64 vcc, |v44|, s73
	v_div_scale_f32 v63, s[14:15], v5, s33, v5
	v_fmac_f32_e32 v71, v79, v71
	v_mul_f32_e32 v78, v61, v70
	v_fma_f32 v85, -v58, v77, v59
	v_fmac_f32_e32 v76, v84, v68
	v_fma_f32 v51, -v54, v75, v55
	v_cndmask_b32_e32 v44, v49, v44, vcc
	s_mov_b64 vcc, s[6:7]
	v_mul_f32_e32 v79, v63, v71
	v_fma_f32 v86, -v60, v78, v61
	v_fmac_f32_e32 v77, v85, v69
	v_fma_f32 v52, -v56, v76, v57
	v_med3_f32 v49, v2, s74, v40
	v_cmp_nlg_f32_e64 s[2:3], |v2|, s73
	v_div_fixup_f32 v45, v48, s33, v45
	v_div_fmas_f32 v48, v51, v67, v75
	s_mov_b64 vcc, s[8:9]
	v_fma_f32 v87, -v62, v79, v63
	v_fmac_f32_e32 v78, v86, v70
	v_fma_f32 v53, -v58, v77, v59
	v_cvt_pk_fp8_f32 v34, v44, v44
	v_cndmask_b32_e64 v2, v49, v2, s[2:3]
	v_med3_f32 v44, v45, s74, v40
	v_cmp_nlg_f32_e64 s[2:3], |v45|, s73
	v_div_fixup_f32 v3, v48, s33, v3
	v_div_fmas_f32 v48, v52, v68, v76
	s_mov_b64 vcc, s[10:11]
	v_fmac_f32_e32 v79, v87, v71
	v_fma_f32 v54, -v60, v78, v61
	v_cvt_pk_fp8_f32 v35, v2, v2
	v_cndmask_b32_e64 v2, v44, v45, s[2:3]
	v_med3_f32 v44, v3, s74, v40
	v_cmp_nlg_f32_e64 s[2:3], |v3|, s73
	v_div_fixup_f32 v45, v48, s33, v46
	v_div_fmas_f32 v46, v53, v69, v77
	s_mov_b64 vcc, s[12:13]
	v_fma_f32 v55, -v62, v79, v63
	v_cvt_pk_fp8_f32 v36, v2, v2
	v_cndmask_b32_e64 v2, v44, v3, s[2:3]
	v_med3_f32 v3, v45, s74, v40
	v_cmp_nlg_f32_e64 s[2:3], |v45|, s73
	v_div_fixup_f32 v4, v46, s33, v4
	v_div_fmas_f32 v44, v54, v70, v78
	s_mov_b64 vcc, s[14:15]
	v_cvt_pk_fp8_f32 v37, v2, v2
	v_cndmask_b32_e64 v2, v3, v45, s[2:3]
	v_med3_f32 v3, v4, s74, v40
	v_cmp_nlg_f32_e64 s[2:3], |v4|, s73
	v_div_fixup_f32 v44, v44, s33, v47
	v_div_fmas_f32 v45, v55, v71, v79
	v_cvt_pk_fp8_f32 v38, v2, v2
	v_cndmask_b32_e64 v2, v3, v4, s[2:3]
	v_med3_f32 v3, v44, s74, v40
	v_cmp_nlg_f32_e64 vcc, |v44|, s73
	v_div_fixup_f32 v4, v45, s33, v5
	v_cvt_pk_fp8_f32 v39, v2, v2
	v_cndmask_b32_e32 v2, v3, v44, vcc
	v_med3_f32 v3, v4, s74, v40
	v_cmp_nlg_f32_e64 vcc, |v4|, s73
	v_cvt_pk_fp8_f32 v42, v2, v2
	v_and_b32_e32 v5, 0xff, v34
	v_cndmask_b32_e32 v2, v3, v4, vcc
	v_cvt_pk_fp8_f32 v43, v2, v2
	v_lshlrev_b32_e32 v34, 8, v35
	v_lshlrev_b32_e32 v3, 16, v36
	v_and_b32_e32 v4, 0xff00, v34
	v_perm_b32 v2, v37, v3, s75
	v_or3_b32 v2, v2, v4, v5
	v_and_b32_e32 v5, 0xff, v42
	v_lshlrev_b32_e32 v34, 24, v43
	v_lshlrev_b32_e32 v5, 16, v5
	v_and_b32_e32 v3, 0xff, v38
	v_lshlrev_b32_sdwa v4, v41, v39 dst_sel:DWORD dst_unused:UNUSED_PAD src0_sel:DWORD src1_sel:BYTE_0
	v_or_b32_e32 v5, v34, v5
	v_or3_b32 v3, v5, v4, v3
	global_store_dwordx2 v[28:29], v[2:3], off
	v_lshl_add_u64 v[28:29], v[28:29], 0, s[56:57]
	s_andn2_b64 exec, exec, s[64:65]
	s_cbranch_execnz .LBB19_29
.LBB19_30:                              ;   in Loop: Header=BB19_9 Depth=1
	s_or_b64 exec, exec, s[62:63]
	v_lshl_add_u32 v2, v15, 3, v6
	v_cmp_lt_i32_e32 vcc, v2, v8
	s_and_saveexec_b64 s[2:3], vcc
	s_cbranch_execz .LBB19_33
; %bb.31:                               ;   in Loop: Header=BB19_9 Depth=1
	v_ashrrev_i32_e32 v3, 31, v2
	v_lshl_add_u64 v[4:5], v[2:3], 1, v[26:27]
	v_lshl_add_u64 v[26:27], v[30:31], 0, v[2:3]
	;; [unrolled: 1-line block ×4, first 2 shown]
	s_mov_b64 s[4:5], 0
.LBB19_32:                              ;   Parent Loop BB19_9 Depth=1
                                        ; =>  This Inner Loop Header: Depth=2
	global_load_ushort v3, v[4:5], off
	v_mov_b32_e32 v15, 0
	v_add_u32_e32 v2, 32, v2
	v_lshl_add_u64 v[4:5], v[4:5], 0, 64
	s_waitcnt vmcnt(0)
	v_lshlrev_b32_e32 v3, 16, v3
	v_div_scale_f32 v25, s[6:7], s33, s33, v3
	v_rcp_f32_e32 v29, v25
	v_div_scale_f32 v28, vcc, v3, s33, v3
	v_fma_f32 v30, -v25, v29, 1.0
	v_fmac_f32_e32 v29, v30, v29
	v_mul_f32_e32 v30, v28, v29
	v_fma_f32 v31, -v25, v30, v28
	v_fmac_f32_e32 v30, v31, v29
	v_fma_f32 v25, -v25, v30, v28
	v_div_fmas_f32 v25, v25, v29, v30
	v_div_fixup_f32 v3, v25, s33, v3
	v_med3_f32 v25, v3, s74, v40
	v_cmp_nlg_f32_e64 vcc, |v3|, s73
	s_nop 1
	v_cndmask_b32_e32 v3, v25, v3, vcc
	v_cvt_pk_fp8_f32 v15, v3, v3
	v_cmp_ge_i32_e32 vcc, v2, v8
	s_or_b64 s[4:5], vcc, s[4:5]
	global_store_byte v[26:27], v15, off
	v_lshl_add_u64 v[26:27], v[26:27], 0, 32
	s_andn2_b64 exec, exec, s[4:5]
	s_cbranch_execnz .LBB19_32
.LBB19_33:                              ;   in Loop: Header=BB19_9 Depth=1
	s_or_b64 exec, exec, s[2:3]
                                        ; implicit-def: $vgpr26_vgpr27
.LBB19_34:                              ;   in Loop: Header=BB19_9 Depth=1
	s_andn2_saveexec_b64 s[60:61], s[60:61]
	s_cbranch_execz .LBB19_8
; %bb.35:                               ;   in Loop: Header=BB19_9 Depth=1
	s_and_saveexec_b64 s[62:63], s[0:1]
	s_cbranch_execz .LBB19_7
; %bb.36:                               ;   in Loop: Header=BB19_9 Depth=1
	v_lshl_add_u64 v[26:27], v[20:21], 0, v[26:27]
	s_mov_b64 s[64:65], 0
	v_mov_b64_e32 v[28:29], v[18:19]
	v_mov_b32_e32 v8, v6
.LBB19_37:                              ;   Parent Loop BB19_9 Depth=1
                                        ; =>  This Inner Loop Header: Depth=2
	global_load_dwordx4 v[2:5], v[26:27], off
	v_add_u32_e32 v8, 32, v8
	v_cmp_le_i32_e32 vcc, s71, v8
	s_or_b64 s[64:65], vcc, s[64:65]
	v_mov_b32_e32 v15, 0
	v_mov_b32_e32 v25, 0
	;; [unrolled: 1-line block ×8, first 2 shown]
	v_lshl_add_u64 v[26:27], v[26:27], 0, s[58:59]
	s_waitcnt vmcnt(0)
	v_lshlrev_b32_e32 v36, 16, v2
	v_and_b32_e32 v2, 0xffff0000, v2
	v_div_scale_f32 v42, s[2:3], s33, s33, v36
	v_lshlrev_b32_e32 v37, 16, v3
	v_div_scale_f32 v44, s[2:3], s33, s33, v2
	v_rcp_f32_e32 v58, v42
	v_div_scale_f32 v46, s[4:5], s33, s33, v37
	v_rcp_f32_e32 v59, v44
	v_and_b32_e32 v3, 0xffff0000, v3
	v_rcp_f32_e32 v60, v46
	v_lshlrev_b32_e32 v38, 16, v4
	v_div_scale_f32 v48, s[6:7], s33, s33, v3
	v_and_b32_e32 v4, 0xffff0000, v4
	v_div_scale_f32 v50, s[8:9], s33, s33, v38
	v_rcp_f32_e32 v61, v48
	v_fma_f32 v66, -v42, v58, 1.0
	v_lshlrev_b32_e32 v39, 16, v5
	v_div_scale_f32 v43, vcc, v36, s33, v36
	v_div_scale_f32 v52, s[10:11], s33, s33, v4
	v_rcp_f32_e32 v62, v50
	v_fma_f32 v67, -v44, v59, 1.0
	v_fmac_f32_e32 v58, v66, v58
	v_and_b32_e32 v5, 0xffff0000, v5
	v_div_scale_f32 v45, s[2:3], v2, s33, v2
	v_div_scale_f32 v54, s[12:13], s33, s33, v39
	v_rcp_f32_e32 v63, v52
	v_fma_f32 v68, -v46, v60, 1.0
	v_fmac_f32_e32 v59, v67, v59
	v_mul_f32_e32 v66, v43, v58
	v_div_scale_f32 v47, s[4:5], v37, s33, v37
	v_div_scale_f32 v56, s[14:15], s33, s33, v5
	v_rcp_f32_e32 v64, v54
	v_fmac_f32_e32 v60, v68, v60
	v_mul_f32_e32 v67, v45, v59
	v_fma_f32 v74, -v42, v66, v43
	v_rcp_f32_e32 v65, v56
	v_fma_f32 v69, -v48, v61, 1.0
	v_mul_f32_e32 v68, v47, v60
	v_fma_f32 v75, -v44, v67, v45
	v_fmac_f32_e32 v66, v74, v58
	v_div_scale_f32 v49, s[6:7], v3, s33, v3
	v_fma_f32 v70, -v50, v62, 1.0
	v_fmac_f32_e32 v61, v69, v61
	v_fma_f32 v76, -v46, v68, v47
	v_fmac_f32_e32 v67, v75, v59
	v_fma_f32 v42, -v42, v66, v43
	v_div_scale_f32 v51, s[8:9], v38, s33, v38
	v_fma_f32 v71, -v52, v63, 1.0
	v_fmac_f32_e32 v62, v70, v62
	v_mul_f32_e32 v69, v49, v61
	v_fmac_f32_e32 v68, v76, v60
	v_fma_f32 v43, -v44, v67, v45
	v_div_fmas_f32 v42, v42, v58, v66
	s_mov_b64 vcc, s[2:3]
	v_div_scale_f32 v53, s[10:11], v4, s33, v4
	v_fma_f32 v72, -v54, v64, 1.0
	v_fmac_f32_e32 v63, v71, v63
	v_mul_f32_e32 v70, v51, v62
	v_fma_f32 v77, -v48, v69, v49
	v_fma_f32 v44, -v46, v68, v47
	v_div_fixup_f32 v36, v42, s33, v36
	v_div_fmas_f32 v42, v43, v59, v67
	s_mov_b64 vcc, s[4:5]
	v_div_scale_f32 v55, s[12:13], v39, s33, v39
	v_fma_f32 v73, -v56, v65, 1.0
	v_fmac_f32_e32 v64, v72, v64
	v_mul_f32_e32 v71, v53, v63
	v_fma_f32 v78, -v50, v70, v51
	v_fmac_f32_e32 v69, v77, v61
	v_med3_f32 v43, v36, s74, v40
	v_div_fixup_f32 v2, v42, s33, v2
	v_div_fmas_f32 v42, v44, v60, v68
	v_cmp_nlg_f32_e64 vcc, |v36|, s73
	v_div_scale_f32 v57, s[14:15], v5, s33, v5
	v_fmac_f32_e32 v65, v73, v65
	v_mul_f32_e32 v72, v55, v64
	v_fma_f32 v79, -v52, v71, v53
	v_fmac_f32_e32 v70, v78, v62
	v_fma_f32 v45, -v48, v69, v49
	v_cndmask_b32_e32 v36, v43, v36, vcc
	s_mov_b64 vcc, s[6:7]
	v_mul_f32_e32 v73, v57, v65
	v_fma_f32 v80, -v54, v72, v55
	v_fmac_f32_e32 v71, v79, v63
	v_fma_f32 v46, -v50, v70, v51
	v_med3_f32 v43, v2, s74, v40
	v_cmp_nlg_f32_e64 s[2:3], |v2|, s73
	v_div_fixup_f32 v37, v42, s33, v37
	v_div_fmas_f32 v42, v45, v61, v69
	s_mov_b64 vcc, s[8:9]
	v_fma_f32 v81, -v56, v73, v57
	v_fmac_f32_e32 v72, v80, v64
	v_fma_f32 v47, -v52, v71, v53
	v_cvt_pk_fp8_f32 v15, v36, v36
	v_cndmask_b32_e64 v2, v43, v2, s[2:3]
	v_med3_f32 v36, v37, s74, v40
	v_cmp_nlg_f32_e64 s[2:3], |v37|, s73
	v_div_fixup_f32 v3, v42, s33, v3
	v_div_fmas_f32 v42, v46, v62, v70
	s_mov_b64 vcc, s[10:11]
	v_fmac_f32_e32 v73, v81, v65
	v_fma_f32 v48, -v54, v72, v55
	v_cvt_pk_fp8_f32 v25, v2, v2
	v_cndmask_b32_e64 v2, v36, v37, s[2:3]
	v_med3_f32 v36, v3, s74, v40
	v_cmp_nlg_f32_e64 s[2:3], |v3|, s73
	v_div_fixup_f32 v37, v42, s33, v38
	v_div_fmas_f32 v38, v47, v63, v71
	s_mov_b64 vcc, s[12:13]
	v_fma_f32 v49, -v56, v73, v57
	v_cvt_pk_fp8_f32 v30, v2, v2
	v_cndmask_b32_e64 v2, v36, v3, s[2:3]
	v_med3_f32 v3, v37, s74, v40
	v_cmp_nlg_f32_e64 s[2:3], |v37|, s73
	v_div_fixup_f32 v4, v38, s33, v4
	v_div_fmas_f32 v36, v48, v64, v72
	s_mov_b64 vcc, s[14:15]
	v_cvt_pk_fp8_f32 v31, v2, v2
	v_cndmask_b32_e64 v2, v3, v37, s[2:3]
	v_med3_f32 v3, v4, s74, v40
	v_cmp_nlg_f32_e64 s[2:3], |v4|, s73
	v_div_fixup_f32 v36, v36, s33, v39
	v_div_fmas_f32 v37, v49, v65, v73
	v_cvt_pk_fp8_f32 v32, v2, v2
	v_cndmask_b32_e64 v2, v3, v4, s[2:3]
	v_med3_f32 v3, v36, s74, v40
	v_cmp_nlg_f32_e64 vcc, |v36|, s73
	v_div_fixup_f32 v4, v37, s33, v5
	v_cvt_pk_fp8_f32 v33, v2, v2
	v_cndmask_b32_e32 v2, v3, v36, vcc
	v_med3_f32 v3, v4, s74, v40
	v_cmp_nlg_f32_e64 vcc, |v4|, s73
	v_cvt_pk_fp8_f32 v34, v2, v2
	v_and_b32_e32 v5, 0xff, v15
	v_cndmask_b32_e32 v2, v3, v4, vcc
	v_cvt_pk_fp8_f32 v35, v2, v2
	v_lshlrev_b32_e32 v15, 8, v25
	v_lshlrev_b32_e32 v3, 16, v30
	v_and_b32_e32 v4, 0xff00, v15
	v_perm_b32 v2, v31, v3, s75
	v_or3_b32 v2, v2, v4, v5
	v_and_b32_e32 v5, 0xff, v34
	v_lshlrev_b32_e32 v15, 24, v35
	v_lshlrev_b32_e32 v5, 16, v5
	v_and_b32_e32 v3, 0xff, v32
	v_lshlrev_b32_sdwa v4, v41, v33 dst_sel:DWORD dst_unused:UNUSED_PAD src0_sel:DWORD src1_sel:BYTE_0
	v_or_b32_e32 v5, v15, v5
	v_or3_b32 v3, v5, v4, v3
	global_store_dwordx2 v[28:29], v[2:3], off
	v_lshl_add_u64 v[28:29], v[28:29], 0, s[56:57]
	s_andn2_b64 exec, exec, s[64:65]
	s_cbranch_execnz .LBB19_37
	s_branch .LBB19_7
.LBB19_38:
	s_or_b64 exec, exec, s[44:45]
	s_mov_b64 s[0:1], 0
.LBB19_39:
	s_andn2_b64 vcc, exec, s[0:1]
	s_cbranch_vccnz .LBB19_71
; %bb.40:
	s_and_b32 s0, s42, 15
	s_mov_b32 s1, 0
	s_mul_i32 s35, s37, s36
	s_cmp_lg_u64 s[0:1], 0
	s_cselect_b64 s[0:1], -1, 0
	s_and_b32 s2, s35, 7
	s_cmp_eq_u32 s2, 0
	s_cselect_b64 s[14:15], -1, 0
	s_cmp_lg_u32 s2, 0
	s_cselect_b64 s[2:3], -1, 0
	s_or_b64 s[2:3], s[0:1], s[2:3]
	s_mov_b64 s[0:1], -1
	s_and_b64 vcc, exec, s[2:3]
	s_cbranch_vccz .LBB19_51
; %bb.41:
	s_sub_i32 s0, 0, s42
	s_bfe_u32 s0, s0, 0x30001
	s_min_i32 s28, s0, s35
	v_cmp_gt_i32_e32 vcc, s28, v0
	s_and_saveexec_b64 s[0:1], vcc
	s_cbranch_execz .LBB19_44
; %bb.42:
	v_mov_b32_e32 v1, 0
	s_add_u32 s2, s16, s38
	s_mov_b32 s25, 0
	v_lshlrev_b32_e32 v2, 1, v0
	v_mov_b32_e32 v3, v1
	s_addc_u32 s3, s17, s39
	v_lshl_add_u64 v[2:3], s[2:3], 0, v[2:3]
	s_lshl_b32 s2, s24, 1
	s_mov_b32 s3, s25
	s_mov_b64 s[4:5], 0
	s_mov_b32 s6, 0x7f800000
	s_mov_b32 s7, 0x43e00000
	v_mov_b32_e32 v6, 0xc3e00000
	v_mov_b64_e32 v[4:5], v[0:1]
.LBB19_43:                              ; =>This Inner Loop Header: Depth=1
	global_load_ushort v1, v[2:3], off
	v_mov_b32_e32 v7, 0
	v_lshl_add_u64 v[8:9], s[40:41], 0, v[4:5]
	v_lshl_add_u64 v[4:5], v[4:5], 0, s[24:25]
	;; [unrolled: 1-line block ×3, first 2 shown]
	s_waitcnt vmcnt(0)
	v_lshlrev_b32_e32 v1, 16, v1
	v_div_scale_f32 v10, s[8:9], s70, s70, v1
	v_rcp_f32_e32 v11, v10
	v_div_scale_f32 v12, vcc, v1, s70, v1
	v_fma_f32 v13, -v10, v11, 1.0
	v_fmac_f32_e32 v11, v13, v11
	v_mul_f32_e32 v13, v12, v11
	v_fma_f32 v14, -v10, v13, v12
	v_fmac_f32_e32 v13, v14, v11
	v_fma_f32 v10, -v10, v13, v12
	v_div_fmas_f32 v10, v10, v11, v13
	v_div_fixup_f32 v1, v10, s70, v1
	v_med3_f32 v10, v1, s7, v6
	v_cmp_nlg_f32_e64 vcc, |v1|, s6
	s_nop 1
	v_cndmask_b32_e32 v1, v10, v1, vcc
	v_cvt_pk_fp8_f32 v7, v1, v1
	v_cmp_le_i32_e32 vcc, s28, v4
	s_or_b64 s[4:5], vcc, s[4:5]
	global_store_byte v[8:9], v7, off
	s_andn2_b64 exec, exec, s[4:5]
	s_cbranch_execnz .LBB19_43
.LBB19_44:
	s_or_b64 exec, exec, s[0:1]
	s_sub_i32 s25, s35, s28
	s_ashr_i32 s0, s25, 31
	s_lshr_b32 s0, s0, 29
	s_add_i32 s0, s25, s0
	s_ashr_i32 s46, s0, 3
	s_ashr_i32 s29, s28, 31
	v_cmp_gt_i32_e32 vcc, s46, v0
	s_and_saveexec_b64 s[36:37], vcc
	s_cbranch_execz .LBB19_47
; %bb.45:
	s_add_u32 s0, s28, s67
	s_addc_u32 s1, s29, s66
	s_add_u32 s0, s0, s69
	s_addc_u32 s1, s1, s68
	s_add_u32 s0, s20, s0
	v_lshlrev_b32_e32 v2, 3, v0
	v_mov_b32_e32 v3, 0
	s_addc_u32 s1, s21, s1
	v_lshl_add_u64 v[6:7], s[0:1], 0, v[2:3]
	s_lshl_b32 s40, s24, 3
	s_lshl_b64 s[0:1], s[28:29], 1
	s_add_u32 s0, s16, s0
	s_addc_u32 s1, s17, s1
	s_add_u32 s0, s0, s38
	s_mov_b32 s41, 0
	v_lshlrev_b32_e32 v2, 4, v0
	s_addc_u32 s1, s1, s39
	v_lshl_add_u64 v[8:9], s[0:1], 0, v[2:3]
	s_lshl_b32 s42, s24, 4
	s_mov_b32 s43, s41
	s_mov_b64 s[44:45], 0
	s_mov_b32 s47, 0x7f800000
	s_mov_b32 s48, 0x43e00000
	v_mov_b32_e32 v1, 0xc3e00000
	s_mov_b32 s49, 0x4020c0c
	v_mov_b32_e32 v10, 8
	v_mov_b32_e32 v11, v0
.LBB19_46:                              ; =>This Inner Loop Header: Depth=1
	global_load_dwordx4 v[2:5], v[8:9], off
	v_add_u32_e32 v11, s24, v11
	v_cmp_le_i32_e32 vcc, s46, v11
	s_or_b64 s[44:45], vcc, s[44:45]
	v_mov_b32_e32 v12, 0
	v_mov_b32_e32 v13, 0
	;; [unrolled: 1-line block ×8, first 2 shown]
	v_lshl_add_u64 v[8:9], v[8:9], 0, s[42:43]
	s_waitcnt vmcnt(0)
	v_lshlrev_b32_e32 v20, 16, v2
	v_and_b32_e32 v2, 0xffff0000, v2
	v_div_scale_f32 v24, s[0:1], s70, s70, v20
	v_lshlrev_b32_e32 v21, 16, v3
	v_div_scale_f32 v26, s[0:1], s70, s70, v2
	v_rcp_f32_e32 v40, v24
	v_div_scale_f32 v28, s[0:1], s70, s70, v21
	v_rcp_f32_e32 v41, v26
	v_and_b32_e32 v3, 0xffff0000, v3
	v_rcp_f32_e32 v42, v28
	v_lshlrev_b32_e32 v22, 16, v4
	v_div_scale_f32 v30, s[0:1], s70, s70, v3
	v_and_b32_e32 v4, 0xffff0000, v4
	v_div_scale_f32 v32, s[0:1], s70, s70, v22
	v_rcp_f32_e32 v43, v30
	v_fma_f32 v48, -v24, v40, 1.0
	v_lshlrev_b32_e32 v23, 16, v5
	v_div_scale_f32 v25, vcc, v20, s70, v20
	v_div_scale_f32 v34, s[0:1], s70, s70, v4
	v_rcp_f32_e32 v44, v32
	v_fma_f32 v49, -v26, v41, 1.0
	v_fmac_f32_e32 v40, v48, v40
	v_and_b32_e32 v5, 0xffff0000, v5
	v_div_scale_f32 v27, s[2:3], v2, s70, v2
	v_div_scale_f32 v36, s[0:1], s70, s70, v23
	v_rcp_f32_e32 v45, v34
	v_fma_f32 v50, -v28, v42, 1.0
	v_fmac_f32_e32 v41, v49, v41
	v_mul_f32_e32 v48, v25, v40
	v_div_scale_f32 v29, s[4:5], v21, s70, v21
	v_div_scale_f32 v38, s[0:1], s70, s70, v5
	v_rcp_f32_e32 v46, v36
	v_fmac_f32_e32 v42, v50, v42
	v_mul_f32_e32 v49, v27, v41
	v_fma_f32 v56, -v24, v48, v25
	v_rcp_f32_e32 v47, v38
	v_fma_f32 v51, -v30, v43, 1.0
	v_mul_f32_e32 v50, v29, v42
	v_fma_f32 v57, -v26, v49, v27
	v_fmac_f32_e32 v48, v56, v40
	v_div_scale_f32 v31, s[6:7], v3, s70, v3
	v_fma_f32 v52, -v32, v44, 1.0
	v_fmac_f32_e32 v43, v51, v43
	v_fma_f32 v58, -v28, v50, v29
	v_fmac_f32_e32 v49, v57, v41
	v_fma_f32 v24, -v24, v48, v25
	v_div_scale_f32 v33, s[8:9], v22, s70, v22
	v_fma_f32 v53, -v34, v45, 1.0
	v_fmac_f32_e32 v44, v52, v44
	v_mul_f32_e32 v51, v31, v43
	v_fmac_f32_e32 v50, v58, v42
	v_fma_f32 v25, -v26, v49, v27
	v_div_fmas_f32 v24, v24, v40, v48
	s_mov_b64 vcc, s[2:3]
	v_div_scale_f32 v35, s[10:11], v4, s70, v4
	v_fma_f32 v54, -v36, v46, 1.0
	v_fmac_f32_e32 v45, v53, v45
	v_mul_f32_e32 v52, v33, v44
	v_fma_f32 v59, -v30, v51, v31
	v_fma_f32 v26, -v28, v50, v29
	v_div_fixup_f32 v20, v24, s70, v20
	v_div_fmas_f32 v24, v25, v41, v49
	s_mov_b64 vcc, s[4:5]
	v_div_scale_f32 v37, s[12:13], v23, s70, v23
	v_fma_f32 v55, -v38, v47, 1.0
	v_fmac_f32_e32 v46, v54, v46
	v_mul_f32_e32 v53, v35, v45
	v_fma_f32 v60, -v32, v52, v33
	v_fmac_f32_e32 v51, v59, v43
	v_med3_f32 v25, v20, s48, v1
	v_div_fixup_f32 v2, v24, s70, v2
	v_div_fmas_f32 v24, v26, v42, v50
	v_cmp_nlg_f32_e64 vcc, |v20|, s47
	v_div_scale_f32 v39, s[0:1], v5, s70, v5
	v_fmac_f32_e32 v47, v55, v47
	v_mul_f32_e32 v54, v37, v46
	v_fma_f32 v61, -v34, v53, v35
	v_fmac_f32_e32 v52, v60, v44
	v_fma_f32 v27, -v30, v51, v31
	v_cndmask_b32_e32 v20, v25, v20, vcc
	s_mov_b64 vcc, s[6:7]
	v_mul_f32_e32 v55, v39, v47
	v_fma_f32 v62, -v36, v54, v37
	v_fmac_f32_e32 v53, v61, v45
	v_fma_f32 v28, -v32, v52, v33
	v_med3_f32 v25, v2, s48, v1
	v_cmp_nlg_f32_e64 s[2:3], |v2|, s47
	v_div_fixup_f32 v21, v24, s70, v21
	v_div_fmas_f32 v24, v27, v43, v51
	s_mov_b64 vcc, s[8:9]
	v_fma_f32 v63, -v38, v55, v39
	v_fmac_f32_e32 v54, v62, v46
	v_fma_f32 v29, -v34, v53, v35
	v_cvt_pk_fp8_f32 v12, v20, v20
	v_cndmask_b32_e64 v2, v25, v2, s[2:3]
	v_med3_f32 v20, v21, s48, v1
	v_cmp_nlg_f32_e64 s[2:3], |v21|, s47
	v_div_fixup_f32 v3, v24, s70, v3
	v_div_fmas_f32 v24, v28, v44, v52
	s_mov_b64 vcc, s[10:11]
	v_fmac_f32_e32 v55, v63, v47
	v_fma_f32 v30, -v36, v54, v37
	v_cvt_pk_fp8_f32 v13, v2, v2
	v_cndmask_b32_e64 v2, v20, v21, s[2:3]
	v_med3_f32 v20, v3, s48, v1
	v_cmp_nlg_f32_e64 s[2:3], |v3|, s47
	v_div_fixup_f32 v21, v24, s70, v22
	v_div_fmas_f32 v22, v29, v45, v53
	s_mov_b64 vcc, s[12:13]
	v_fma_f32 v31, -v38, v55, v39
	v_cvt_pk_fp8_f32 v14, v2, v2
	v_cndmask_b32_e64 v2, v20, v3, s[2:3]
	v_med3_f32 v3, v21, s48, v1
	v_cmp_nlg_f32_e64 s[2:3], |v21|, s47
	v_div_fixup_f32 v4, v22, s70, v4
	v_div_fmas_f32 v20, v30, v46, v54
	s_mov_b64 vcc, s[0:1]
	v_cvt_pk_fp8_f32 v15, v2, v2
	v_cndmask_b32_e64 v2, v3, v21, s[2:3]
	v_med3_f32 v3, v4, s48, v1
	v_cmp_nlg_f32_e64 s[2:3], |v4|, s47
	v_div_fixup_f32 v20, v20, s70, v23
	v_div_fmas_f32 v21, v31, v47, v55
	v_cvt_pk_fp8_f32 v16, v2, v2
	v_cndmask_b32_e64 v2, v3, v4, s[2:3]
	v_med3_f32 v3, v20, s48, v1
	v_cmp_nlg_f32_e64 vcc, |v20|, s47
	v_div_fixup_f32 v4, v21, s70, v5
	v_cvt_pk_fp8_f32 v17, v2, v2
	v_cndmask_b32_e32 v2, v3, v20, vcc
	v_med3_f32 v3, v4, s48, v1
	v_cmp_nlg_f32_e64 vcc, |v4|, s47
	v_cvt_pk_fp8_f32 v18, v2, v2
	v_and_b32_e32 v5, 0xff, v12
	v_cndmask_b32_e32 v2, v3, v4, vcc
	v_cvt_pk_fp8_f32 v19, v2, v2
	v_lshlrev_b32_e32 v12, 8, v13
	v_lshlrev_b32_e32 v3, 16, v14
	v_and_b32_e32 v4, 0xff00, v12
	v_perm_b32 v2, v15, v3, s49
	v_or3_b32 v2, v2, v4, v5
	v_and_b32_e32 v5, 0xff, v18
	v_lshlrev_b32_e32 v12, 24, v19
	v_lshlrev_b32_e32 v5, 16, v5
	v_and_b32_e32 v3, 0xff, v16
	v_lshlrev_b32_sdwa v4, v10, v17 dst_sel:DWORD dst_unused:UNUSED_PAD src0_sel:DWORD src1_sel:BYTE_0
	v_or_b32_e32 v5, v12, v5
	v_or3_b32 v3, v5, v4, v3
	global_store_dwordx2 v[6:7], v[2:3], off
	v_lshl_add_u64 v[6:7], v[6:7], 0, s[40:41]
	s_andn2_b64 exec, exec, s[44:45]
	s_cbranch_execnz .LBB19_46
.LBB19_47:
	s_or_b64 exec, exec, s[36:37]
	v_lshl_add_u32 v2, s46, 3, v0
	v_cmp_gt_i32_e32 vcc, s25, v2
	s_and_saveexec_b64 s[0:1], vcc
	s_cbranch_execz .LBB19_50
; %bb.48:
	s_lshl_b64 s[4:5], s[28:29], 1
	s_add_u32 s2, s38, s4
	s_addc_u32 s5, s39, s5
	s_add_u32 s4, s16, s2
	v_ashrrev_i32_e32 v3, 31, v2
	s_addc_u32 s5, s17, s5
	s_lshl_b32 s2, s24, 1
	v_lshl_add_u64 v[4:5], v[2:3], 1, s[4:5]
	s_add_u32 s4, s28, s67
	s_addc_u32 s5, s29, s66
	s_add_u32 s4, s4, s69
	s_addc_u32 s5, s5, s68
	;; [unrolled: 2-line block ×3, first 2 shown]
	s_mov_b32 s3, 0
	v_lshl_add_u64 v[6:7], s[4:5], 0, v[2:3]
	s_mov_b64 s[4:5], 0
	s_mov_b32 s8, 0x7f800000
	s_mov_b32 s9, 0x43e00000
	v_mov_b32_e32 v1, 0xc3e00000
	s_mov_b64 s[6:7], 0
.LBB19_49:                              ; =>This Inner Loop Header: Depth=1
	global_load_ushort v3, v[4:5], off
	v_mov_b32_e32 v10, 0
	v_lshl_add_u64 v[8:9], v[6:7], 0, s[6:7]
	s_add_u32 s6, s6, s24
	s_addc_u32 s7, s7, 0
	v_lshl_add_u64 v[4:5], v[4:5], 0, s[2:3]
	s_waitcnt vmcnt(0)
	v_lshlrev_b32_e32 v3, 16, v3
	v_div_scale_f32 v11, s[10:11], s70, s70, v3
	v_rcp_f32_e32 v12, v11
	v_div_scale_f32 v13, vcc, v3, s70, v3
	v_fma_f32 v14, -v11, v12, 1.0
	v_fmac_f32_e32 v12, v14, v12
	v_mul_f32_e32 v14, v13, v12
	v_fma_f32 v15, -v11, v14, v13
	v_fmac_f32_e32 v14, v15, v12
	v_fma_f32 v11, -v11, v14, v13
	v_div_fmas_f32 v11, v11, v12, v14
	v_div_fixup_f32 v3, v11, s70, v3
	v_med3_f32 v11, v3, s9, v1
	v_cmp_nlg_f32_e64 vcc, |v3|, s8
	s_nop 1
	v_cndmask_b32_e32 v3, v11, v3, vcc
	v_cvt_pk_fp8_f32 v10, v3, v3
	v_add_u32_e32 v3, s6, v2
	v_cmp_le_i32_e32 vcc, s25, v3
	s_or_b64 s[4:5], vcc, s[4:5]
	global_store_byte v[8:9], v10, off
	s_andn2_b64 exec, exec, s[4:5]
	s_cbranch_execnz .LBB19_49
.LBB19_50:
	s_or_b64 exec, exec, s[0:1]
	s_mov_b64 s[0:1], 0
.LBB19_51:
	s_and_b64 vcc, exec, s[0:1]
	s_cbranch_vccz .LBB19_56
; %bb.52:
	s_ashr_i32 s25, s35, 3
	v_cmp_gt_i32_e32 vcc, s25, v0
	s_and_saveexec_b64 s[28:29], vcc
	s_cbranch_execz .LBB19_55
; %bb.53:
	s_add_u32 s0, s67, s69
	s_addc_u32 s1, s66, s68
	s_add_u32 s0, s20, s0
	v_lshlrev_b32_e32 v2, 3, v0
	v_mov_b32_e32 v3, 0
	s_addc_u32 s1, s21, s1
	s_lshl_b32 s36, s24, 3
	v_lshl_add_u64 v[6:7], s[0:1], 0, v[2:3]
	s_add_u32 s0, s16, s38
	s_mov_b32 s37, 0
	v_lshlrev_b32_e32 v2, 4, v0
	s_addc_u32 s1, s17, s39
	v_lshl_add_u64 v[8:9], s[0:1], 0, v[2:3]
	s_lshl_b32 s16, s24, 4
	s_mov_b32 s17, s37
	s_mov_b64 s[20:21], 0
	s_mov_b32 s38, 0x7f800000
	s_mov_b32 s39, 0x43e00000
	v_mov_b32_e32 v1, 0xc3e00000
	s_mov_b32 s40, 0x4020c0c
	v_mov_b32_e32 v10, 8
	v_mov_b32_e32 v11, v0
.LBB19_54:                              ; =>This Inner Loop Header: Depth=1
	global_load_dwordx4 v[2:5], v[8:9], off
	v_add_u32_e32 v11, s24, v11
	v_cmp_le_i32_e32 vcc, s25, v11
	s_or_b64 s[20:21], vcc, s[20:21]
	v_mov_b32_e32 v12, 0
	v_mov_b32_e32 v13, 0
	;; [unrolled: 1-line block ×8, first 2 shown]
	v_lshl_add_u64 v[8:9], v[8:9], 0, s[16:17]
	s_waitcnt vmcnt(0)
	v_lshlrev_b32_e32 v20, 16, v2
	v_and_b32_e32 v2, 0xffff0000, v2
	v_div_scale_f32 v24, s[0:1], s70, s70, v20
	v_lshlrev_b32_e32 v21, 16, v3
	v_div_scale_f32 v26, s[0:1], s70, s70, v2
	v_rcp_f32_e32 v40, v24
	v_div_scale_f32 v28, s[0:1], s70, s70, v21
	v_rcp_f32_e32 v41, v26
	v_and_b32_e32 v3, 0xffff0000, v3
	v_rcp_f32_e32 v42, v28
	v_lshlrev_b32_e32 v22, 16, v4
	v_div_scale_f32 v30, s[0:1], s70, s70, v3
	v_and_b32_e32 v4, 0xffff0000, v4
	v_div_scale_f32 v32, s[0:1], s70, s70, v22
	v_rcp_f32_e32 v43, v30
	v_fma_f32 v48, -v24, v40, 1.0
	v_lshlrev_b32_e32 v23, 16, v5
	v_div_scale_f32 v25, vcc, v20, s70, v20
	v_div_scale_f32 v34, s[0:1], s70, s70, v4
	v_rcp_f32_e32 v44, v32
	v_fma_f32 v49, -v26, v41, 1.0
	v_fmac_f32_e32 v40, v48, v40
	v_and_b32_e32 v5, 0xffff0000, v5
	v_div_scale_f32 v27, s[2:3], v2, s70, v2
	v_div_scale_f32 v36, s[0:1], s70, s70, v23
	v_rcp_f32_e32 v45, v34
	v_fma_f32 v50, -v28, v42, 1.0
	v_fmac_f32_e32 v41, v49, v41
	v_mul_f32_e32 v48, v25, v40
	v_div_scale_f32 v29, s[4:5], v21, s70, v21
	v_div_scale_f32 v38, s[0:1], s70, s70, v5
	v_rcp_f32_e32 v46, v36
	v_fmac_f32_e32 v42, v50, v42
	v_mul_f32_e32 v49, v27, v41
	v_fma_f32 v56, -v24, v48, v25
	v_rcp_f32_e32 v47, v38
	v_fma_f32 v51, -v30, v43, 1.0
	v_mul_f32_e32 v50, v29, v42
	v_fma_f32 v57, -v26, v49, v27
	v_fmac_f32_e32 v48, v56, v40
	v_div_scale_f32 v31, s[6:7], v3, s70, v3
	v_fma_f32 v52, -v32, v44, 1.0
	v_fmac_f32_e32 v43, v51, v43
	v_fma_f32 v58, -v28, v50, v29
	v_fmac_f32_e32 v49, v57, v41
	v_fma_f32 v24, -v24, v48, v25
	v_div_scale_f32 v33, s[8:9], v22, s70, v22
	v_fma_f32 v53, -v34, v45, 1.0
	v_fmac_f32_e32 v44, v52, v44
	v_mul_f32_e32 v51, v31, v43
	v_fmac_f32_e32 v50, v58, v42
	v_fma_f32 v25, -v26, v49, v27
	v_div_fmas_f32 v24, v24, v40, v48
	s_mov_b64 vcc, s[2:3]
	v_div_scale_f32 v35, s[10:11], v4, s70, v4
	v_fma_f32 v54, -v36, v46, 1.0
	v_fmac_f32_e32 v45, v53, v45
	v_mul_f32_e32 v52, v33, v44
	v_fma_f32 v59, -v30, v51, v31
	v_fma_f32 v26, -v28, v50, v29
	v_div_fixup_f32 v20, v24, s70, v20
	v_div_fmas_f32 v24, v25, v41, v49
	s_mov_b64 vcc, s[4:5]
	v_div_scale_f32 v37, s[12:13], v23, s70, v23
	v_fma_f32 v55, -v38, v47, 1.0
	v_fmac_f32_e32 v46, v54, v46
	v_mul_f32_e32 v53, v35, v45
	v_fma_f32 v60, -v32, v52, v33
	v_fmac_f32_e32 v51, v59, v43
	v_med3_f32 v25, v20, s39, v1
	v_div_fixup_f32 v2, v24, s70, v2
	v_div_fmas_f32 v24, v26, v42, v50
	v_cmp_nlg_f32_e64 vcc, |v20|, s38
	v_div_scale_f32 v39, s[0:1], v5, s70, v5
	v_fmac_f32_e32 v47, v55, v47
	v_mul_f32_e32 v54, v37, v46
	v_fma_f32 v61, -v34, v53, v35
	v_fmac_f32_e32 v52, v60, v44
	v_fma_f32 v27, -v30, v51, v31
	v_cndmask_b32_e32 v20, v25, v20, vcc
	s_mov_b64 vcc, s[6:7]
	v_mul_f32_e32 v55, v39, v47
	v_fma_f32 v62, -v36, v54, v37
	v_fmac_f32_e32 v53, v61, v45
	v_fma_f32 v28, -v32, v52, v33
	v_med3_f32 v25, v2, s39, v1
	v_cmp_nlg_f32_e64 s[2:3], |v2|, s38
	v_div_fixup_f32 v21, v24, s70, v21
	v_div_fmas_f32 v24, v27, v43, v51
	s_mov_b64 vcc, s[8:9]
	v_fma_f32 v63, -v38, v55, v39
	v_fmac_f32_e32 v54, v62, v46
	v_fma_f32 v29, -v34, v53, v35
	v_cvt_pk_fp8_f32 v12, v20, v20
	v_cndmask_b32_e64 v2, v25, v2, s[2:3]
	v_med3_f32 v20, v21, s39, v1
	v_cmp_nlg_f32_e64 s[2:3], |v21|, s38
	v_div_fixup_f32 v3, v24, s70, v3
	v_div_fmas_f32 v24, v28, v44, v52
	s_mov_b64 vcc, s[10:11]
	v_fmac_f32_e32 v55, v63, v47
	v_fma_f32 v30, -v36, v54, v37
	v_cvt_pk_fp8_f32 v13, v2, v2
	v_cndmask_b32_e64 v2, v20, v21, s[2:3]
	v_med3_f32 v20, v3, s39, v1
	v_cmp_nlg_f32_e64 s[2:3], |v3|, s38
	v_div_fixup_f32 v21, v24, s70, v22
	v_div_fmas_f32 v22, v29, v45, v53
	s_mov_b64 vcc, s[12:13]
	v_fma_f32 v31, -v38, v55, v39
	v_cvt_pk_fp8_f32 v14, v2, v2
	v_cndmask_b32_e64 v2, v20, v3, s[2:3]
	v_med3_f32 v3, v21, s39, v1
	v_cmp_nlg_f32_e64 s[2:3], |v21|, s38
	v_div_fixup_f32 v4, v22, s70, v4
	v_div_fmas_f32 v20, v30, v46, v54
	s_mov_b64 vcc, s[0:1]
	v_cvt_pk_fp8_f32 v15, v2, v2
	v_cndmask_b32_e64 v2, v3, v21, s[2:3]
	v_med3_f32 v3, v4, s39, v1
	v_cmp_nlg_f32_e64 s[2:3], |v4|, s38
	v_div_fixup_f32 v20, v20, s70, v23
	v_div_fmas_f32 v21, v31, v47, v55
	v_cvt_pk_fp8_f32 v16, v2, v2
	v_cndmask_b32_e64 v2, v3, v4, s[2:3]
	v_med3_f32 v3, v20, s39, v1
	v_cmp_nlg_f32_e64 vcc, |v20|, s38
	v_div_fixup_f32 v4, v21, s70, v5
	v_cvt_pk_fp8_f32 v17, v2, v2
	v_cndmask_b32_e32 v2, v3, v20, vcc
	v_med3_f32 v3, v4, s39, v1
	v_cmp_nlg_f32_e64 vcc, |v4|, s38
	v_cvt_pk_fp8_f32 v18, v2, v2
	v_and_b32_e32 v5, 0xff, v12
	v_cndmask_b32_e32 v2, v3, v4, vcc
	v_cvt_pk_fp8_f32 v19, v2, v2
	v_lshlrev_b32_e32 v12, 8, v13
	v_lshlrev_b32_e32 v3, 16, v14
	v_and_b32_e32 v4, 0xff00, v12
	v_perm_b32 v2, v15, v3, s40
	v_or3_b32 v2, v2, v4, v5
	v_and_b32_e32 v5, 0xff, v18
	v_lshlrev_b32_e32 v12, 24, v19
	v_lshlrev_b32_e32 v5, 16, v5
	v_and_b32_e32 v3, 0xff, v16
	v_lshlrev_b32_sdwa v4, v10, v17 dst_sel:DWORD dst_unused:UNUSED_PAD src0_sel:DWORD src1_sel:BYTE_0
	v_or_b32_e32 v5, v12, v5
	v_or3_b32 v3, v5, v4, v3
	global_store_dwordx2 v[6:7], v[2:3], off
	v_lshl_add_u64 v[6:7], v[6:7], 0, s[36:37]
	s_andn2_b64 exec, exec, s[20:21]
	s_cbranch_execnz .LBB19_54
.LBB19_55:
	s_or_b64 exec, exec, s[28:29]
.LBB19_56:
	s_and_b32 s0, s34, 15
	s_mov_b32 s1, 0
	s_cmp_lg_u64 s[0:1], 0
	s_cselect_b64 s[2:3], -1, 0
	s_xor_b64 s[4:5], s[14:15], -1
	s_or_b64 s[2:3], s[4:5], s[2:3]
	s_mov_b64 s[0:1], -1
	s_and_b64 vcc, exec, s[2:3]
	s_cbranch_vccz .LBB19_67
; %bb.57:
	s_sub_i32 s0, 0, s34
	s_bfe_u32 s0, s0, 0x30001
	s_min_i32 s14, s0, s35
	v_cmp_gt_i32_e32 vcc, s14, v0
	s_and_saveexec_b64 s[0:1], vcc
	s_cbranch_execz .LBB19_60
; %bb.58:
	v_mov_b32_e32 v1, 0
	s_add_u32 s2, s18, s30
	s_mov_b32 s25, 0
	v_lshlrev_b32_e32 v2, 1, v0
	v_mov_b32_e32 v3, v1
	s_addc_u32 s3, s19, s31
	v_lshl_add_u64 v[2:3], s[2:3], 0, v[2:3]
	s_lshl_b32 s2, s24, 1
	s_mov_b32 s3, s25
	s_mov_b64 s[4:5], 0
	s_mov_b32 s6, 0x7f800000
	s_mov_b32 s7, 0x43e00000
	v_mov_b32_e32 v6, 0xc3e00000
	v_mov_b64_e32 v[4:5], v[0:1]
.LBB19_59:                              ; =>This Inner Loop Header: Depth=1
	global_load_ushort v1, v[2:3], off
	v_mov_b32_e32 v7, 0
	v_lshl_add_u64 v[8:9], s[26:27], 0, v[4:5]
	v_lshl_add_u64 v[4:5], v[4:5], 0, s[24:25]
	;; [unrolled: 1-line block ×3, first 2 shown]
	s_waitcnt vmcnt(0)
	v_lshlrev_b32_e32 v1, 16, v1
	v_div_scale_f32 v10, s[8:9], s33, s33, v1
	v_rcp_f32_e32 v11, v10
	v_div_scale_f32 v12, vcc, v1, s33, v1
	v_fma_f32 v13, -v10, v11, 1.0
	v_fmac_f32_e32 v11, v13, v11
	v_mul_f32_e32 v13, v12, v11
	v_fma_f32 v14, -v10, v13, v12
	v_fmac_f32_e32 v13, v14, v11
	v_fma_f32 v10, -v10, v13, v12
	v_div_fmas_f32 v10, v10, v11, v13
	v_div_fixup_f32 v1, v10, s33, v1
	v_med3_f32 v10, v1, s7, v6
	v_cmp_nlg_f32_e64 vcc, |v1|, s6
	s_nop 1
	v_cndmask_b32_e32 v1, v10, v1, vcc
	v_cvt_pk_fp8_f32 v7, v1, v1
	v_cmp_le_i32_e32 vcc, s14, v4
	s_or_b64 s[4:5], vcc, s[4:5]
	global_store_byte v[8:9], v7, off
	s_andn2_b64 exec, exec, s[4:5]
	s_cbranch_execnz .LBB19_59
.LBB19_60:
	s_or_b64 exec, exec, s[0:1]
	s_sub_i32 s25, s35, s14
	s_ashr_i32 s0, s25, 31
	s_lshr_b32 s0, s0, 29
	s_add_i32 s0, s25, s0
	s_ashr_i32 s34, s0, 3
	s_ashr_i32 s15, s14, 31
	v_cmp_gt_i32_e32 vcc, s34, v0
	s_and_saveexec_b64 s[16:17], vcc
	s_cbranch_execz .LBB19_63
; %bb.61:
	s_add_u32 s0, s14, s67
	s_addc_u32 s1, s15, s66
	s_add_u32 s0, s0, s69
	s_addc_u32 s1, s1, s68
	s_add_u32 s0, s22, s0
	v_lshlrev_b32_e32 v2, 3, v0
	v_mov_b32_e32 v3, 0
	s_addc_u32 s1, s23, s1
	v_lshl_add_u64 v[6:7], s[0:1], 0, v[2:3]
	s_lshl_b32 s20, s24, 3
	s_lshl_b64 s[0:1], s[14:15], 1
	s_add_u32 s0, s18, s0
	s_addc_u32 s1, s19, s1
	s_add_u32 s0, s0, s30
	s_mov_b32 s21, 0
	v_lshlrev_b32_e32 v2, 4, v0
	s_addc_u32 s1, s1, s31
	v_lshl_add_u64 v[8:9], s[0:1], 0, v[2:3]
	s_lshl_b32 s26, s24, 4
	s_mov_b32 s27, s21
	s_mov_b64 s[28:29], 0
	s_mov_b32 s36, 0x7f800000
	s_mov_b32 s37, 0x43e00000
	v_mov_b32_e32 v1, 0xc3e00000
	s_mov_b32 s38, 0x4020c0c
	v_mov_b32_e32 v10, 8
	v_mov_b32_e32 v11, v0
.LBB19_62:                              ; =>This Inner Loop Header: Depth=1
	global_load_dwordx4 v[2:5], v[8:9], off
	v_add_u32_e32 v11, s24, v11
	v_cmp_le_i32_e32 vcc, s34, v11
	s_or_b64 s[28:29], vcc, s[28:29]
	v_mov_b32_e32 v12, 0
	v_mov_b32_e32 v13, 0
	v_mov_b32_e32 v14, 0
	v_mov_b32_e32 v15, 0
	v_mov_b32_e32 v16, 0
	v_mov_b32_e32 v17, 0
	v_mov_b32_e32 v18, 0
	v_mov_b32_e32 v19, 0
	v_lshl_add_u64 v[8:9], v[8:9], 0, s[26:27]
	s_waitcnt vmcnt(0)
	v_lshlrev_b32_e32 v20, 16, v2
	v_and_b32_e32 v2, 0xffff0000, v2
	v_div_scale_f32 v24, s[0:1], s33, s33, v20
	v_lshlrev_b32_e32 v21, 16, v3
	v_div_scale_f32 v26, s[0:1], s33, s33, v2
	v_rcp_f32_e32 v40, v24
	v_div_scale_f32 v28, s[0:1], s33, s33, v21
	v_rcp_f32_e32 v41, v26
	v_and_b32_e32 v3, 0xffff0000, v3
	v_rcp_f32_e32 v42, v28
	v_lshlrev_b32_e32 v22, 16, v4
	v_div_scale_f32 v30, s[0:1], s33, s33, v3
	v_and_b32_e32 v4, 0xffff0000, v4
	v_div_scale_f32 v32, s[0:1], s33, s33, v22
	v_rcp_f32_e32 v43, v30
	v_fma_f32 v48, -v24, v40, 1.0
	v_lshlrev_b32_e32 v23, 16, v5
	v_div_scale_f32 v25, vcc, v20, s33, v20
	v_div_scale_f32 v34, s[0:1], s33, s33, v4
	v_rcp_f32_e32 v44, v32
	v_fma_f32 v49, -v26, v41, 1.0
	v_fmac_f32_e32 v40, v48, v40
	v_and_b32_e32 v5, 0xffff0000, v5
	v_div_scale_f32 v27, s[2:3], v2, s33, v2
	v_div_scale_f32 v36, s[0:1], s33, s33, v23
	v_rcp_f32_e32 v45, v34
	v_fma_f32 v50, -v28, v42, 1.0
	v_fmac_f32_e32 v41, v49, v41
	v_mul_f32_e32 v48, v25, v40
	v_div_scale_f32 v29, s[4:5], v21, s33, v21
	v_div_scale_f32 v38, s[0:1], s33, s33, v5
	v_rcp_f32_e32 v46, v36
	v_fmac_f32_e32 v42, v50, v42
	v_mul_f32_e32 v49, v27, v41
	v_fma_f32 v56, -v24, v48, v25
	v_rcp_f32_e32 v47, v38
	v_fma_f32 v51, -v30, v43, 1.0
	v_mul_f32_e32 v50, v29, v42
	v_fma_f32 v57, -v26, v49, v27
	v_fmac_f32_e32 v48, v56, v40
	v_div_scale_f32 v31, s[6:7], v3, s33, v3
	v_fma_f32 v52, -v32, v44, 1.0
	v_fmac_f32_e32 v43, v51, v43
	v_fma_f32 v58, -v28, v50, v29
	v_fmac_f32_e32 v49, v57, v41
	v_fma_f32 v24, -v24, v48, v25
	v_div_scale_f32 v33, s[8:9], v22, s33, v22
	v_fma_f32 v53, -v34, v45, 1.0
	v_fmac_f32_e32 v44, v52, v44
	v_mul_f32_e32 v51, v31, v43
	v_fmac_f32_e32 v50, v58, v42
	v_fma_f32 v25, -v26, v49, v27
	v_div_fmas_f32 v24, v24, v40, v48
	s_mov_b64 vcc, s[2:3]
	v_div_scale_f32 v35, s[10:11], v4, s33, v4
	v_fma_f32 v54, -v36, v46, 1.0
	v_fmac_f32_e32 v45, v53, v45
	v_mul_f32_e32 v52, v33, v44
	v_fma_f32 v59, -v30, v51, v31
	v_fma_f32 v26, -v28, v50, v29
	v_div_fixup_f32 v20, v24, s33, v20
	v_div_fmas_f32 v24, v25, v41, v49
	s_mov_b64 vcc, s[4:5]
	v_div_scale_f32 v37, s[12:13], v23, s33, v23
	v_fma_f32 v55, -v38, v47, 1.0
	v_fmac_f32_e32 v46, v54, v46
	v_mul_f32_e32 v53, v35, v45
	v_fma_f32 v60, -v32, v52, v33
	v_fmac_f32_e32 v51, v59, v43
	v_med3_f32 v25, v20, s37, v1
	v_div_fixup_f32 v2, v24, s33, v2
	v_div_fmas_f32 v24, v26, v42, v50
	v_cmp_nlg_f32_e64 vcc, |v20|, s36
	v_div_scale_f32 v39, s[0:1], v5, s33, v5
	v_fmac_f32_e32 v47, v55, v47
	v_mul_f32_e32 v54, v37, v46
	v_fma_f32 v61, -v34, v53, v35
	v_fmac_f32_e32 v52, v60, v44
	v_fma_f32 v27, -v30, v51, v31
	v_cndmask_b32_e32 v20, v25, v20, vcc
	s_mov_b64 vcc, s[6:7]
	v_mul_f32_e32 v55, v39, v47
	v_fma_f32 v62, -v36, v54, v37
	v_fmac_f32_e32 v53, v61, v45
	v_fma_f32 v28, -v32, v52, v33
	v_med3_f32 v25, v2, s37, v1
	v_cmp_nlg_f32_e64 s[2:3], |v2|, s36
	v_div_fixup_f32 v21, v24, s33, v21
	v_div_fmas_f32 v24, v27, v43, v51
	s_mov_b64 vcc, s[8:9]
	v_fma_f32 v63, -v38, v55, v39
	v_fmac_f32_e32 v54, v62, v46
	v_fma_f32 v29, -v34, v53, v35
	v_cvt_pk_fp8_f32 v12, v20, v20
	v_cndmask_b32_e64 v2, v25, v2, s[2:3]
	v_med3_f32 v20, v21, s37, v1
	v_cmp_nlg_f32_e64 s[2:3], |v21|, s36
	v_div_fixup_f32 v3, v24, s33, v3
	v_div_fmas_f32 v24, v28, v44, v52
	s_mov_b64 vcc, s[10:11]
	v_fmac_f32_e32 v55, v63, v47
	v_fma_f32 v30, -v36, v54, v37
	v_cvt_pk_fp8_f32 v13, v2, v2
	v_cndmask_b32_e64 v2, v20, v21, s[2:3]
	v_med3_f32 v20, v3, s37, v1
	v_cmp_nlg_f32_e64 s[2:3], |v3|, s36
	v_div_fixup_f32 v21, v24, s33, v22
	v_div_fmas_f32 v22, v29, v45, v53
	s_mov_b64 vcc, s[12:13]
	v_fma_f32 v31, -v38, v55, v39
	v_cvt_pk_fp8_f32 v14, v2, v2
	v_cndmask_b32_e64 v2, v20, v3, s[2:3]
	v_med3_f32 v3, v21, s37, v1
	v_cmp_nlg_f32_e64 s[2:3], |v21|, s36
	v_div_fixup_f32 v4, v22, s33, v4
	v_div_fmas_f32 v20, v30, v46, v54
	s_mov_b64 vcc, s[0:1]
	v_cvt_pk_fp8_f32 v15, v2, v2
	v_cndmask_b32_e64 v2, v3, v21, s[2:3]
	v_med3_f32 v3, v4, s37, v1
	v_cmp_nlg_f32_e64 s[2:3], |v4|, s36
	v_div_fixup_f32 v20, v20, s33, v23
	v_div_fmas_f32 v21, v31, v47, v55
	v_cvt_pk_fp8_f32 v16, v2, v2
	v_cndmask_b32_e64 v2, v3, v4, s[2:3]
	v_med3_f32 v3, v20, s37, v1
	v_cmp_nlg_f32_e64 vcc, |v20|, s36
	v_div_fixup_f32 v4, v21, s33, v5
	v_cvt_pk_fp8_f32 v17, v2, v2
	v_cndmask_b32_e32 v2, v3, v20, vcc
	v_med3_f32 v3, v4, s37, v1
	v_cmp_nlg_f32_e64 vcc, |v4|, s36
	v_cvt_pk_fp8_f32 v18, v2, v2
	v_and_b32_e32 v5, 0xff, v12
	v_cndmask_b32_e32 v2, v3, v4, vcc
	v_cvt_pk_fp8_f32 v19, v2, v2
	v_lshlrev_b32_e32 v12, 8, v13
	v_lshlrev_b32_e32 v3, 16, v14
	v_and_b32_e32 v4, 0xff00, v12
	v_perm_b32 v2, v15, v3, s38
	v_or3_b32 v2, v2, v4, v5
	v_and_b32_e32 v5, 0xff, v18
	v_lshlrev_b32_e32 v12, 24, v19
	v_lshlrev_b32_e32 v5, 16, v5
	v_and_b32_e32 v3, 0xff, v16
	v_lshlrev_b32_sdwa v4, v10, v17 dst_sel:DWORD dst_unused:UNUSED_PAD src0_sel:DWORD src1_sel:BYTE_0
	v_or_b32_e32 v5, v12, v5
	v_or3_b32 v3, v5, v4, v3
	global_store_dwordx2 v[6:7], v[2:3], off
	v_lshl_add_u64 v[6:7], v[6:7], 0, s[20:21]
	s_andn2_b64 exec, exec, s[28:29]
	s_cbranch_execnz .LBB19_62
.LBB19_63:
	s_or_b64 exec, exec, s[16:17]
	v_lshl_add_u32 v2, s34, 3, v0
	v_cmp_gt_i32_e32 vcc, s25, v2
	s_and_saveexec_b64 s[0:1], vcc
	s_cbranch_execz .LBB19_66
; %bb.64:
	s_lshl_b64 s[4:5], s[14:15], 1
	s_add_u32 s2, s30, s4
	s_addc_u32 s5, s31, s5
	s_add_u32 s4, s18, s2
	v_ashrrev_i32_e32 v3, 31, v2
	s_addc_u32 s5, s19, s5
	s_lshl_b32 s2, s24, 1
	v_lshl_add_u64 v[4:5], v[2:3], 1, s[4:5]
	s_add_u32 s4, s14, s67
	s_addc_u32 s5, s15, s66
	s_add_u32 s4, s4, s69
	s_addc_u32 s5, s5, s68
	;; [unrolled: 2-line block ×3, first 2 shown]
	s_mov_b32 s3, 0
	v_lshl_add_u64 v[6:7], s[4:5], 0, v[2:3]
	s_mov_b64 s[4:5], 0
	s_mov_b32 s8, 0x7f800000
	s_mov_b32 s9, 0x43e00000
	v_mov_b32_e32 v1, 0xc3e00000
	s_mov_b64 s[6:7], 0
.LBB19_65:                              ; =>This Inner Loop Header: Depth=1
	global_load_ushort v3, v[4:5], off
	v_mov_b32_e32 v10, 0
	v_lshl_add_u64 v[8:9], v[6:7], 0, s[6:7]
	s_add_u32 s6, s6, s24
	s_addc_u32 s7, s7, 0
	v_lshl_add_u64 v[4:5], v[4:5], 0, s[2:3]
	s_waitcnt vmcnt(0)
	v_lshlrev_b32_e32 v3, 16, v3
	v_div_scale_f32 v11, s[10:11], s33, s33, v3
	v_rcp_f32_e32 v12, v11
	v_div_scale_f32 v13, vcc, v3, s33, v3
	v_fma_f32 v14, -v11, v12, 1.0
	v_fmac_f32_e32 v12, v14, v12
	v_mul_f32_e32 v14, v13, v12
	v_fma_f32 v15, -v11, v14, v13
	v_fmac_f32_e32 v14, v15, v12
	v_fma_f32 v11, -v11, v14, v13
	v_div_fmas_f32 v11, v11, v12, v14
	v_div_fixup_f32 v3, v11, s33, v3
	v_med3_f32 v11, v3, s9, v1
	v_cmp_nlg_f32_e64 vcc, |v3|, s8
	s_nop 1
	v_cndmask_b32_e32 v3, v11, v3, vcc
	v_cvt_pk_fp8_f32 v10, v3, v3
	v_add_u32_e32 v3, s6, v2
	v_cmp_le_i32_e32 vcc, s25, v3
	s_or_b64 s[4:5], vcc, s[4:5]
	global_store_byte v[8:9], v10, off
	s_andn2_b64 exec, exec, s[4:5]
	s_cbranch_execnz .LBB19_65
.LBB19_66:
	s_or_b64 exec, exec, s[0:1]
	s_mov_b64 s[0:1], 0
.LBB19_67:
	s_and_b64 vcc, exec, s[0:1]
	s_cbranch_vccz .LBB19_71
; %bb.68:
	s_ashr_i32 s20, s35, 3
	v_cmp_gt_i32_e32 vcc, s20, v0
	s_and_saveexec_b64 s[0:1], vcc
	s_cbranch_execz .LBB19_71
; %bb.69:
	s_add_u32 s0, s67, s69
	s_addc_u32 s1, s66, s68
	s_add_u32 s0, s22, s0
	v_lshlrev_b32_e32 v2, 3, v0
	v_mov_b32_e32 v3, 0
	s_addc_u32 s1, s23, s1
	s_lshl_b32 s14, s24, 3
	v_lshl_add_u64 v[6:7], s[0:1], 0, v[2:3]
	s_add_u32 s0, s18, s30
	s_mov_b32 s15, 0
	v_lshlrev_b32_e32 v2, 4, v0
	s_addc_u32 s1, s19, s31
	v_lshl_add_u64 v[8:9], s[0:1], 0, v[2:3]
	s_lshl_b32 s16, s24, 4
	s_mov_b32 s17, s15
	s_mov_b64 s[18:19], 0
	s_mov_b32 s21, 0x7f800000
	s_mov_b32 s22, 0x43e00000
	v_mov_b32_e32 v1, 0xc3e00000
	s_mov_b32 s23, 0x4020c0c
	v_mov_b32_e32 v10, 8
.LBB19_70:                              ; =>This Inner Loop Header: Depth=1
	global_load_dwordx4 v[2:5], v[8:9], off
	v_add_u32_e32 v0, s24, v0
	v_cmp_le_i32_e32 vcc, s20, v0
	s_or_b64 s[18:19], vcc, s[18:19]
	v_mov_b32_e32 v11, 0
	v_mov_b32_e32 v12, 0
	;; [unrolled: 1-line block ×8, first 2 shown]
	v_lshl_add_u64 v[8:9], v[8:9], 0, s[16:17]
	s_waitcnt vmcnt(0)
	v_lshlrev_b32_e32 v19, 16, v2
	v_and_b32_e32 v2, 0xffff0000, v2
	v_div_scale_f32 v23, s[0:1], s33, s33, v19
	v_lshlrev_b32_e32 v20, 16, v3
	v_div_scale_f32 v25, s[0:1], s33, s33, v2
	v_rcp_f32_e32 v39, v23
	v_div_scale_f32 v27, s[0:1], s33, s33, v20
	v_rcp_f32_e32 v40, v25
	v_and_b32_e32 v3, 0xffff0000, v3
	v_rcp_f32_e32 v41, v27
	v_lshlrev_b32_e32 v21, 16, v4
	v_div_scale_f32 v29, s[0:1], s33, s33, v3
	v_and_b32_e32 v4, 0xffff0000, v4
	v_div_scale_f32 v31, s[0:1], s33, s33, v21
	v_rcp_f32_e32 v42, v29
	v_fma_f32 v47, -v23, v39, 1.0
	v_lshlrev_b32_e32 v22, 16, v5
	v_div_scale_f32 v24, vcc, v19, s33, v19
	v_div_scale_f32 v33, s[0:1], s33, s33, v4
	v_rcp_f32_e32 v43, v31
	v_fma_f32 v48, -v25, v40, 1.0
	v_fmac_f32_e32 v39, v47, v39
	v_and_b32_e32 v5, 0xffff0000, v5
	v_div_scale_f32 v26, s[2:3], v2, s33, v2
	v_div_scale_f32 v35, s[0:1], s33, s33, v22
	v_rcp_f32_e32 v44, v33
	v_fma_f32 v49, -v27, v41, 1.0
	v_fmac_f32_e32 v40, v48, v40
	v_mul_f32_e32 v47, v24, v39
	v_div_scale_f32 v28, s[4:5], v20, s33, v20
	v_div_scale_f32 v37, s[0:1], s33, s33, v5
	v_rcp_f32_e32 v45, v35
	v_fmac_f32_e32 v41, v49, v41
	v_mul_f32_e32 v48, v26, v40
	v_fma_f32 v55, -v23, v47, v24
	v_rcp_f32_e32 v46, v37
	v_fma_f32 v50, -v29, v42, 1.0
	v_mul_f32_e32 v49, v28, v41
	v_fma_f32 v56, -v25, v48, v26
	v_fmac_f32_e32 v47, v55, v39
	v_div_scale_f32 v30, s[6:7], v3, s33, v3
	v_fma_f32 v51, -v31, v43, 1.0
	v_fmac_f32_e32 v42, v50, v42
	v_fma_f32 v57, -v27, v49, v28
	v_fmac_f32_e32 v48, v56, v40
	v_fma_f32 v23, -v23, v47, v24
	v_div_scale_f32 v32, s[8:9], v21, s33, v21
	v_fma_f32 v52, -v33, v44, 1.0
	v_fmac_f32_e32 v43, v51, v43
	v_mul_f32_e32 v50, v30, v42
	v_fmac_f32_e32 v49, v57, v41
	v_fma_f32 v24, -v25, v48, v26
	v_div_fmas_f32 v23, v23, v39, v47
	s_mov_b64 vcc, s[2:3]
	v_div_scale_f32 v34, s[10:11], v4, s33, v4
	v_fma_f32 v53, -v35, v45, 1.0
	v_fmac_f32_e32 v44, v52, v44
	v_mul_f32_e32 v51, v32, v43
	v_fma_f32 v58, -v29, v50, v30
	v_fma_f32 v25, -v27, v49, v28
	v_div_fixup_f32 v19, v23, s33, v19
	v_div_fmas_f32 v23, v24, v40, v48
	s_mov_b64 vcc, s[4:5]
	v_div_scale_f32 v36, s[12:13], v22, s33, v22
	v_fma_f32 v54, -v37, v46, 1.0
	v_fmac_f32_e32 v45, v53, v45
	v_mul_f32_e32 v52, v34, v44
	v_fma_f32 v59, -v31, v51, v32
	v_fmac_f32_e32 v50, v58, v42
	v_med3_f32 v24, v19, s22, v1
	v_div_fixup_f32 v2, v23, s33, v2
	v_div_fmas_f32 v23, v25, v41, v49
	v_cmp_nlg_f32_e64 vcc, |v19|, s21
	v_div_scale_f32 v38, s[0:1], v5, s33, v5
	v_fmac_f32_e32 v46, v54, v46
	v_mul_f32_e32 v53, v36, v45
	v_fma_f32 v60, -v33, v52, v34
	v_fmac_f32_e32 v51, v59, v43
	v_fma_f32 v26, -v29, v50, v30
	v_cndmask_b32_e32 v19, v24, v19, vcc
	s_mov_b64 vcc, s[6:7]
	v_mul_f32_e32 v54, v38, v46
	v_fma_f32 v61, -v35, v53, v36
	v_fmac_f32_e32 v52, v60, v44
	v_fma_f32 v27, -v31, v51, v32
	v_med3_f32 v24, v2, s22, v1
	v_cmp_nlg_f32_e64 s[2:3], |v2|, s21
	v_div_fixup_f32 v20, v23, s33, v20
	v_div_fmas_f32 v23, v26, v42, v50
	s_mov_b64 vcc, s[8:9]
	v_fma_f32 v62, -v37, v54, v38
	v_fmac_f32_e32 v53, v61, v45
	v_fma_f32 v28, -v33, v52, v34
	v_cvt_pk_fp8_f32 v11, v19, v19
	v_cndmask_b32_e64 v2, v24, v2, s[2:3]
	v_med3_f32 v19, v20, s22, v1
	v_cmp_nlg_f32_e64 s[2:3], |v20|, s21
	v_div_fixup_f32 v3, v23, s33, v3
	v_div_fmas_f32 v23, v27, v43, v51
	s_mov_b64 vcc, s[10:11]
	v_fmac_f32_e32 v54, v62, v46
	v_fma_f32 v29, -v35, v53, v36
	v_cvt_pk_fp8_f32 v12, v2, v2
	v_cndmask_b32_e64 v2, v19, v20, s[2:3]
	v_med3_f32 v19, v3, s22, v1
	v_cmp_nlg_f32_e64 s[2:3], |v3|, s21
	v_div_fixup_f32 v20, v23, s33, v21
	v_div_fmas_f32 v21, v28, v44, v52
	s_mov_b64 vcc, s[12:13]
	v_fma_f32 v30, -v37, v54, v38
	v_cvt_pk_fp8_f32 v13, v2, v2
	v_cndmask_b32_e64 v2, v19, v3, s[2:3]
	v_med3_f32 v3, v20, s22, v1
	v_cmp_nlg_f32_e64 s[2:3], |v20|, s21
	v_div_fixup_f32 v4, v21, s33, v4
	v_div_fmas_f32 v19, v29, v45, v53
	s_mov_b64 vcc, s[0:1]
	v_cvt_pk_fp8_f32 v14, v2, v2
	v_cndmask_b32_e64 v2, v3, v20, s[2:3]
	v_med3_f32 v3, v4, s22, v1
	v_cmp_nlg_f32_e64 s[2:3], |v4|, s21
	v_div_fixup_f32 v19, v19, s33, v22
	v_div_fmas_f32 v20, v30, v46, v54
	v_cvt_pk_fp8_f32 v15, v2, v2
	v_cndmask_b32_e64 v2, v3, v4, s[2:3]
	v_med3_f32 v3, v19, s22, v1
	v_cmp_nlg_f32_e64 vcc, |v19|, s21
	v_div_fixup_f32 v4, v20, s33, v5
	v_cvt_pk_fp8_f32 v16, v2, v2
	v_cndmask_b32_e32 v2, v3, v19, vcc
	v_med3_f32 v3, v4, s22, v1
	v_cmp_nlg_f32_e64 vcc, |v4|, s21
	v_cvt_pk_fp8_f32 v17, v2, v2
	v_and_b32_e32 v5, 0xff, v11
	v_cndmask_b32_e32 v2, v3, v4, vcc
	v_cvt_pk_fp8_f32 v18, v2, v2
	v_lshlrev_b32_e32 v11, 8, v12
	v_lshlrev_b32_e32 v3, 16, v13
	v_and_b32_e32 v4, 0xff00, v11
	v_perm_b32 v2, v14, v3, s23
	v_or3_b32 v2, v2, v4, v5
	v_and_b32_e32 v5, 0xff, v17
	v_lshlrev_b32_e32 v11, 24, v18
	v_lshlrev_b32_e32 v5, 16, v5
	v_and_b32_e32 v3, 0xff, v15
	v_lshlrev_b32_sdwa v4, v10, v16 dst_sel:DWORD dst_unused:UNUSED_PAD src0_sel:DWORD src1_sel:BYTE_0
	v_or_b32_e32 v5, v11, v5
	v_or3_b32 v3, v5, v4, v3
	global_store_dwordx2 v[6:7], v[2:3], off
	v_lshl_add_u64 v[6:7], v[6:7], 0, s[14:15]
	s_andn2_b64 exec, exec, s[18:19]
	s_cbranch_execnz .LBB19_70
.LBB19_71:
	s_endpgm
.LBB19_72:
                                        ; implicit-def: $sgpr10_sgpr11
	s_branch .LBB19_3
	.section	.rodata,"a",@progbits
	.p2align	6, 0x0
	.amdhsa_kernel _ZN4vllm30reshape_and_cache_flash_kernelI14__hip_bfloat16hLNS_18Fp8KVCacheDataTypeE1EEEvPKT_S5_PT0_S7_PKlllllliiiPKfSB_
		.amdhsa_group_segment_fixed_size 0
		.amdhsa_private_segment_fixed_size 0
		.amdhsa_kernarg_size 368
		.amdhsa_user_sgpr_count 2
		.amdhsa_user_sgpr_dispatch_ptr 0
		.amdhsa_user_sgpr_queue_ptr 0
		.amdhsa_user_sgpr_kernarg_segment_ptr 1
		.amdhsa_user_sgpr_dispatch_id 0
		.amdhsa_user_sgpr_kernarg_preload_length 0
		.amdhsa_user_sgpr_kernarg_preload_offset 0
		.amdhsa_user_sgpr_private_segment_size 0
		.amdhsa_uses_dynamic_stack 0
		.amdhsa_enable_private_segment 0
		.amdhsa_system_sgpr_workgroup_id_x 1
		.amdhsa_system_sgpr_workgroup_id_y 0
		.amdhsa_system_sgpr_workgroup_id_z 0
		.amdhsa_system_sgpr_workgroup_info 0
		.amdhsa_system_vgpr_workitem_id 0
		.amdhsa_next_free_vgpr 94
		.amdhsa_next_free_sgpr 76
		.amdhsa_accum_offset 96
		.amdhsa_reserve_vcc 1
		.amdhsa_float_round_mode_32 0
		.amdhsa_float_round_mode_16_64 0
		.amdhsa_float_denorm_mode_32 3
		.amdhsa_float_denorm_mode_16_64 3
		.amdhsa_dx10_clamp 1
		.amdhsa_ieee_mode 1
		.amdhsa_fp16_overflow 0
		.amdhsa_tg_split 0
		.amdhsa_exception_fp_ieee_invalid_op 0
		.amdhsa_exception_fp_denorm_src 0
		.amdhsa_exception_fp_ieee_div_zero 0
		.amdhsa_exception_fp_ieee_overflow 0
		.amdhsa_exception_fp_ieee_underflow 0
		.amdhsa_exception_fp_ieee_inexact 0
		.amdhsa_exception_int_div_zero 0
	.end_amdhsa_kernel
	.section	.text._ZN4vllm30reshape_and_cache_flash_kernelI14__hip_bfloat16hLNS_18Fp8KVCacheDataTypeE1EEEvPKT_S5_PT0_S7_PKlllllliiiPKfSB_,"axG",@progbits,_ZN4vllm30reshape_and_cache_flash_kernelI14__hip_bfloat16hLNS_18Fp8KVCacheDataTypeE1EEEvPKT_S5_PT0_S7_PKlllllliiiPKfSB_,comdat
.Lfunc_end19:
	.size	_ZN4vllm30reshape_and_cache_flash_kernelI14__hip_bfloat16hLNS_18Fp8KVCacheDataTypeE1EEEvPKT_S5_PT0_S7_PKlllllliiiPKfSB_, .Lfunc_end19-_ZN4vllm30reshape_and_cache_flash_kernelI14__hip_bfloat16hLNS_18Fp8KVCacheDataTypeE1EEEvPKT_S5_PT0_S7_PKlllllliiiPKfSB_
                                        ; -- End function
	.set _ZN4vllm30reshape_and_cache_flash_kernelI14__hip_bfloat16hLNS_18Fp8KVCacheDataTypeE1EEEvPKT_S5_PT0_S7_PKlllllliiiPKfSB_.num_vgpr, 94
	.set _ZN4vllm30reshape_and_cache_flash_kernelI14__hip_bfloat16hLNS_18Fp8KVCacheDataTypeE1EEEvPKT_S5_PT0_S7_PKlllllliiiPKfSB_.num_agpr, 0
	.set _ZN4vllm30reshape_and_cache_flash_kernelI14__hip_bfloat16hLNS_18Fp8KVCacheDataTypeE1EEEvPKT_S5_PT0_S7_PKlllllliiiPKfSB_.numbered_sgpr, 76
	.set _ZN4vllm30reshape_and_cache_flash_kernelI14__hip_bfloat16hLNS_18Fp8KVCacheDataTypeE1EEEvPKT_S5_PT0_S7_PKlllllliiiPKfSB_.num_named_barrier, 0
	.set _ZN4vllm30reshape_and_cache_flash_kernelI14__hip_bfloat16hLNS_18Fp8KVCacheDataTypeE1EEEvPKT_S5_PT0_S7_PKlllllliiiPKfSB_.private_seg_size, 0
	.set _ZN4vllm30reshape_and_cache_flash_kernelI14__hip_bfloat16hLNS_18Fp8KVCacheDataTypeE1EEEvPKT_S5_PT0_S7_PKlllllliiiPKfSB_.uses_vcc, 1
	.set _ZN4vllm30reshape_and_cache_flash_kernelI14__hip_bfloat16hLNS_18Fp8KVCacheDataTypeE1EEEvPKT_S5_PT0_S7_PKlllllliiiPKfSB_.uses_flat_scratch, 0
	.set _ZN4vllm30reshape_and_cache_flash_kernelI14__hip_bfloat16hLNS_18Fp8KVCacheDataTypeE1EEEvPKT_S5_PT0_S7_PKlllllliiiPKfSB_.has_dyn_sized_stack, 0
	.set _ZN4vllm30reshape_and_cache_flash_kernelI14__hip_bfloat16hLNS_18Fp8KVCacheDataTypeE1EEEvPKT_S5_PT0_S7_PKlllllliiiPKfSB_.has_recursion, 0
	.set _ZN4vllm30reshape_and_cache_flash_kernelI14__hip_bfloat16hLNS_18Fp8KVCacheDataTypeE1EEEvPKT_S5_PT0_S7_PKlllllliiiPKfSB_.has_indirect_call, 0
	.section	.AMDGPU.csdata,"",@progbits
; Kernel info:
; codeLenInByte = 12948
; TotalNumSgprs: 82
; NumVgprs: 94
; NumAgprs: 0
; TotalNumVgprs: 94
; ScratchSize: 0
; MemoryBound: 0
; FloatMode: 240
; IeeeMode: 1
; LDSByteSize: 0 bytes/workgroup (compile time only)
; SGPRBlocks: 10
; VGPRBlocks: 11
; NumSGPRsForWavesPerEU: 82
; NumVGPRsForWavesPerEU: 94
; AccumOffset: 96
; Occupancy: 5
; WaveLimiterHint : 1
; COMPUTE_PGM_RSRC2:SCRATCH_EN: 0
; COMPUTE_PGM_RSRC2:USER_SGPR: 2
; COMPUTE_PGM_RSRC2:TRAP_HANDLER: 0
; COMPUTE_PGM_RSRC2:TGID_X_EN: 1
; COMPUTE_PGM_RSRC2:TGID_Y_EN: 0
; COMPUTE_PGM_RSRC2:TGID_Z_EN: 0
; COMPUTE_PGM_RSRC2:TIDIG_COMP_CNT: 0
; COMPUTE_PGM_RSRC3_GFX90A:ACCUM_OFFSET: 23
; COMPUTE_PGM_RSRC3_GFX90A:TG_SPLIT: 0
	.section	.text._ZN4vllm27concat_and_cache_mla_kernelIffLNS_18Fp8KVCacheDataTypeE0EEEvPKT_S4_PT0_PKliiiiiiiPKf,"axG",@progbits,_ZN4vllm27concat_and_cache_mla_kernelIffLNS_18Fp8KVCacheDataTypeE0EEEvPKT_S4_PT0_PKliiiiiiiPKf,comdat
	.protected	_ZN4vllm27concat_and_cache_mla_kernelIffLNS_18Fp8KVCacheDataTypeE0EEEvPKT_S4_PT0_PKliiiiiiiPKf ; -- Begin function _ZN4vllm27concat_and_cache_mla_kernelIffLNS_18Fp8KVCacheDataTypeE0EEEvPKT_S4_PT0_PKliiiiiiiPKf
	.globl	_ZN4vllm27concat_and_cache_mla_kernelIffLNS_18Fp8KVCacheDataTypeE0EEEvPKT_S4_PT0_PKliiiiiiiPKf
	.p2align	8
	.type	_ZN4vllm27concat_and_cache_mla_kernelIffLNS_18Fp8KVCacheDataTypeE0EEEvPKT_S4_PT0_PKliiiiiiiPKf,@function
_ZN4vllm27concat_and_cache_mla_kernelIffLNS_18Fp8KVCacheDataTypeE0EEEvPKT_S4_PT0_PKliiiiiiiPKf: ; @_ZN4vllm27concat_and_cache_mla_kernelIffLNS_18Fp8KVCacheDataTypeE0EEEvPKT_S4_PT0_PKliiiiiiiPKf
; %bb.0:
	s_load_dwordx2 s[4:5], s[0:1], 0x18
	s_mov_b32 s3, 0
	s_lshl_b64 s[6:7], s[2:3], 3
	s_waitcnt lgkmcnt(0)
	s_add_u32 s4, s4, s6
	s_addc_u32 s5, s5, s7
	s_load_dwordx2 s[12:13], s[4:5], 0x0
	s_waitcnt lgkmcnt(0)
	v_cmp_lt_i64_e64 s[4:5], s[12:13], 0
	s_and_b64 vcc, exec, s[4:5]
	s_cbranch_vccnz .LBB20_10
; %bb.1:
	s_load_dwordx8 s[4:11], s[0:1], 0x20
	s_waitcnt lgkmcnt(0)
	s_ashr_i32 s11, s10, 31
	s_or_b64 s[14:15], s[12:13], s[10:11]
	s_mov_b32 s14, s3
	s_cmp_lg_u64 s[14:15], 0
	s_cbranch_scc0 .LBB20_11
; %bb.2:
	s_ashr_i32 s14, s11, 31
	s_add_u32 s16, s10, s14
	s_mov_b32 s15, s14
	s_addc_u32 s17, s11, s14
	s_xor_b64 s[16:17], s[16:17], s[14:15]
	v_cvt_f32_u32_e32 v1, s16
	v_cvt_f32_u32_e32 v2, s17
	s_sub_u32 s3, 0, s16
	s_subb_u32 s22, 0, s17
	v_fmamk_f32 v1, v2, 0x4f800000, v1
	v_rcp_f32_e32 v1, v1
	s_nop 0
	v_mul_f32_e32 v1, 0x5f7ffffc, v1
	v_mul_f32_e32 v2, 0x2f800000, v1
	v_trunc_f32_e32 v2, v2
	v_fmamk_f32 v1, v2, 0xcf800000, v1
	v_cvt_u32_f32_e32 v2, v2
	v_cvt_u32_f32_e32 v1, v1
	v_readfirstlane_b32 s23, v2
	v_readfirstlane_b32 s20, v1
	s_mul_i32 s21, s3, s23
	s_mul_hi_u32 s25, s3, s20
	s_mul_i32 s24, s22, s20
	s_add_i32 s21, s25, s21
	s_add_i32 s21, s21, s24
	s_mul_i32 s26, s3, s20
	s_mul_i32 s25, s20, s21
	s_mul_hi_u32 s27, s20, s26
	s_mul_hi_u32 s24, s20, s21
	s_add_u32 s25, s27, s25
	s_addc_u32 s24, 0, s24
	s_mul_hi_u32 s28, s23, s26
	s_mul_i32 s26, s23, s26
	s_add_u32 s25, s25, s26
	s_mul_hi_u32 s27, s23, s21
	s_addc_u32 s24, s24, s28
	s_addc_u32 s25, s27, 0
	s_mul_i32 s21, s23, s21
	s_add_u32 s21, s24, s21
	s_addc_u32 s24, 0, s25
	s_add_u32 s25, s20, s21
	s_cselect_b64 s[20:21], -1, 0
	s_cmp_lg_u64 s[20:21], 0
	s_addc_u32 s23, s23, s24
	s_mul_i32 s20, s3, s23
	s_mul_hi_u32 s21, s3, s25
	s_add_i32 s20, s21, s20
	s_mul_i32 s22, s22, s25
	s_add_i32 s20, s20, s22
	s_mul_i32 s3, s3, s25
	s_mul_hi_u32 s22, s23, s3
	s_mul_i32 s24, s23, s3
	s_mul_i32 s27, s25, s20
	s_mul_hi_u32 s3, s25, s3
	s_mul_hi_u32 s26, s25, s20
	s_add_u32 s3, s3, s27
	s_addc_u32 s26, 0, s26
	s_add_u32 s3, s3, s24
	s_mul_hi_u32 s21, s23, s20
	s_addc_u32 s3, s26, s22
	s_addc_u32 s21, s21, 0
	s_mul_i32 s20, s23, s20
	s_add_u32 s3, s3, s20
	s_addc_u32 s22, 0, s21
	s_add_u32 s3, s25, s3
	s_cselect_b64 s[20:21], -1, 0
	s_cmp_lg_u64 s[20:21], 0
	s_addc_u32 s24, s23, s22
	s_ashr_i32 s20, s13, 31
	s_add_u32 s22, s12, s20
	s_mov_b32 s21, s20
	s_addc_u32 s23, s13, s20
	s_xor_b64 s[22:23], s[22:23], s[20:21]
	s_mul_i32 s26, s22, s24
	s_mul_hi_u32 s27, s22, s3
	s_mul_hi_u32 s25, s22, s24
	s_add_u32 s26, s27, s26
	s_addc_u32 s25, 0, s25
	s_mul_hi_u32 s28, s23, s3
	s_mul_i32 s3, s23, s3
	s_add_u32 s3, s26, s3
	s_mul_hi_u32 s27, s23, s24
	s_addc_u32 s3, s25, s28
	s_addc_u32 s25, s27, 0
	s_mul_i32 s24, s23, s24
	s_add_u32 s3, s3, s24
	s_addc_u32 s28, 0, s25
	s_mul_i32 s24, s16, s28
	s_mul_hi_u32 s25, s16, s3
	s_add_i32 s24, s25, s24
	s_mul_i32 s25, s17, s3
	s_add_i32 s29, s24, s25
	s_sub_i32 s26, s23, s29
	s_mul_i32 s24, s16, s3
	s_sub_u32 s22, s22, s24
	s_cselect_b64 s[24:25], -1, 0
	s_cmp_lg_u64 s[24:25], 0
	s_subb_u32 s30, s26, s17
	s_sub_u32 s31, s22, s16
	s_cselect_b64 s[26:27], -1, 0
	s_cmp_lg_u64 s[26:27], 0
	s_subb_u32 s26, s30, 0
	s_cmp_ge_u32 s26, s17
	s_cselect_b32 s27, -1, 0
	s_cmp_ge_u32 s31, s16
	s_cselect_b32 s30, -1, 0
	s_cmp_eq_u32 s26, s17
	s_cselect_b32 s26, s30, s27
	s_add_u32 s27, s3, 1
	s_addc_u32 s30, s28, 0
	s_add_u32 s31, s3, 2
	s_addc_u32 s33, s28, 0
	s_cmp_lg_u32 s26, 0
	s_cselect_b32 s26, s31, s27
	s_cselect_b32 s27, s33, s30
	s_cmp_lg_u64 s[24:25], 0
	s_subb_u32 s23, s23, s29
	s_cmp_ge_u32 s23, s17
	s_cselect_b32 s24, -1, 0
	s_cmp_ge_u32 s22, s16
	s_cselect_b32 s16, -1, 0
	s_cmp_eq_u32 s23, s17
	s_cselect_b32 s16, s16, s24
	s_cmp_lg_u32 s16, 0
	s_cselect_b32 s17, s27, s28
	s_cselect_b32 s16, s26, s3
	s_xor_b64 s[14:15], s[20:21], s[14:15]
	s_xor_b64 s[16:17], s[16:17], s[14:15]
	s_sub_u32 s16, s16, s14
	s_subb_u32 s17, s17, s15
	s_load_dwordx2 s[14:15], s[0:1], 0x10
	s_cbranch_execnz .LBB20_4
.LBB20_3:
	v_cvt_f32_u32_e32 v1, s10
	s_sub_i32 s3, 0, s10
	s_mov_b32 s17, 0
	v_rcp_iflag_f32_e32 v1, v1
	s_nop 0
	v_mul_f32_e32 v1, 0x4f7ffffe, v1
	v_cvt_u32_f32_e32 v1, v1
	s_nop 0
	v_readfirstlane_b32 s16, v1
	s_mul_i32 s3, s3, s16
	s_mul_hi_u32 s3, s16, s3
	s_add_i32 s16, s16, s3
	s_mul_hi_u32 s3, s12, s16
	s_mul_i32 s18, s3, s10
	s_sub_i32 s18, s12, s18
	s_add_i32 s16, s3, 1
	s_sub_i32 s19, s18, s10
	s_cmp_ge_u32 s18, s10
	s_cselect_b32 s3, s16, s3
	s_cselect_b32 s18, s19, s18
	s_add_i32 s16, s3, 1
	s_cmp_ge_u32 s18, s10
	s_cselect_b32 s16, s16, s3
.LBB20_4:
	s_mul_i32 s3, s16, s11
	s_mul_hi_u32 s11, s16, s10
	s_load_dwordx2 s[18:19], s[0:1], 0x8
	s_add_i32 s3, s11, s3
	s_mul_i32 s11, s17, s10
	s_add_i32 s11, s3, s11
	s_mul_i32 s3, s16, s10
	s_sub_u32 s3, s12, s3
	s_subb_u32 s28, s13, s11
	v_cmp_gt_i32_e32 vcc, s8, v0
	s_mul_hi_u32 s29, s16, s4
	s_mul_i32 s30, s17, s4
	s_mul_i32 s10, s16, s4
	s_mul_hi_u32 s17, s3, s5
	s_mul_i32 s28, s28, s5
	s_mul_i32 s12, s3, s5
	s_and_saveexec_b64 s[20:21], vcc
	s_cbranch_execz .LBB20_7
; %bb.5:
	s_ashr_i32 s11, s6, 31
	s_mul_hi_u32 s13, s6, s2
	s_mul_i32 s24, s6, s2
	s_ashr_i32 s6, s4, 31
	s_mul_i32 s6, s16, s6
	s_load_dwordx2 s[22:23], s[0:1], 0x0
	s_mul_i32 s11, s11, s2
	s_add_i32 s6, s29, s6
	s_add_i32 s25, s13, s11
	;; [unrolled: 1-line block ×3, first 2 shown]
	s_ashr_i32 s6, s5, 31
	s_mul_i32 s6, s3, s6
	s_add_i32 s6, s17, s6
	s_add_i32 s13, s6, s28
	s_lshl_b64 s[24:25], s[24:25], 2
	s_load_dword s6, s[0:1], 0x54
	s_waitcnt lgkmcnt(0)
	s_add_u32 s22, s22, s24
	s_addc_u32 s23, s23, s25
	s_lshl_b64 s[24:25], s[10:11], 2
	s_add_u32 s11, s14, s24
	s_addc_u32 s26, s15, s25
	s_lshl_b64 s[24:25], s[12:13], 2
	s_add_u32 s24, s11, s24
	s_addc_u32 s25, s26, s25
	s_and_b32 s6, s6, 0xffff
	s_mov_b64 s[26:27], 0
	v_mov_b32_e32 v2, v0
.LBB20_6:                               ; =>This Inner Loop Header: Depth=1
	v_ashrrev_i32_e32 v3, 31, v2
	v_lshlrev_b64 v[4:5], 2, v[2:3]
	v_lshl_add_u64 v[6:7], s[22:23], 0, v[4:5]
	global_load_dword v1, v[6:7], off
	v_add_u32_e32 v2, s6, v2
	v_cmp_le_i32_e32 vcc, s8, v2
	v_lshl_add_u64 v[4:5], s[24:25], 0, v[4:5]
	s_or_b64 s[26:27], vcc, s[26:27]
	s_waitcnt vmcnt(0)
	global_store_dword v[4:5], v1, off
	s_andn2_b64 exec, exec, s[26:27]
	s_cbranch_execnz .LBB20_6
.LBB20_7:
	s_or_b64 exec, exec, s[20:21]
	v_cmp_gt_i32_e32 vcc, s9, v0
	s_and_saveexec_b64 s[20:21], vcc
	s_cbranch_execz .LBB20_10
; %bb.8:
	s_ashr_i32 s6, s7, 31
	s_mul_hi_u32 s11, s7, s2
	s_mul_i32 s6, s6, s2
	s_mul_i32 s20, s7, s2
	s_ashr_i32 s2, s4, 31
	s_mul_i32 s2, s16, s2
	s_add_i32 s2, s29, s2
	s_add_i32 s21, s11, s6
	s_add_i32 s11, s2, s30
	s_ashr_i32 s2, s5, 31
	s_mul_i32 s3, s3, s2
	s_add_i32 s2, s17, s3
	s_add_i32 s13, s2, s28
	s_ashr_i32 s5, s8, 31
	s_lshl_b64 s[2:3], s[20:21], 2
	s_waitcnt lgkmcnt(0)
	s_add_u32 s2, s18, s2
	s_addc_u32 s3, s19, s3
	s_lshl_b64 s[6:7], s[10:11], 2
	s_mov_b32 s4, s8
	s_add_u32 s8, s14, s6
	s_addc_u32 s10, s15, s7
	s_lshl_b64 s[6:7], s[12:13], 2
	s_add_u32 s6, s8, s6
	s_load_dword s8, s[0:1], 0x54
	s_addc_u32 s7, s10, s7
	s_lshl_b64 s[0:1], s[4:5], 2
	s_add_u32 s0, s6, s0
	s_addc_u32 s1, s7, s1
	s_waitcnt lgkmcnt(0)
	s_and_b32 s6, s8, 0xffff
	s_mov_b64 s[4:5], 0
.LBB20_9:                               ; =>This Inner Loop Header: Depth=1
	v_ashrrev_i32_e32 v1, 31, v0
	v_lshlrev_b64 v[2:3], 2, v[0:1]
	v_lshl_add_u64 v[4:5], s[2:3], 0, v[2:3]
	global_load_dword v1, v[4:5], off
	v_add_u32_e32 v0, s6, v0
	v_cmp_le_i32_e32 vcc, s9, v0
	v_lshl_add_u64 v[2:3], s[0:1], 0, v[2:3]
	s_or_b64 s[4:5], vcc, s[4:5]
	s_waitcnt vmcnt(0)
	global_store_dword v[2:3], v1, off
	s_andn2_b64 exec, exec, s[4:5]
	s_cbranch_execnz .LBB20_9
.LBB20_10:
	s_endpgm
.LBB20_11:
                                        ; implicit-def: $sgpr16_sgpr17
	s_load_dwordx2 s[14:15], s[0:1], 0x10
	s_branch .LBB20_3
	.section	.rodata,"a",@progbits
	.p2align	6, 0x0
	.amdhsa_kernel _ZN4vllm27concat_and_cache_mla_kernelIffLNS_18Fp8KVCacheDataTypeE0EEEvPKT_S4_PT0_PKliiiiiiiPKf
		.amdhsa_group_segment_fixed_size 0
		.amdhsa_private_segment_fixed_size 0
		.amdhsa_kernarg_size 328
		.amdhsa_user_sgpr_count 2
		.amdhsa_user_sgpr_dispatch_ptr 0
		.amdhsa_user_sgpr_queue_ptr 0
		.amdhsa_user_sgpr_kernarg_segment_ptr 1
		.amdhsa_user_sgpr_dispatch_id 0
		.amdhsa_user_sgpr_kernarg_preload_length 0
		.amdhsa_user_sgpr_kernarg_preload_offset 0
		.amdhsa_user_sgpr_private_segment_size 0
		.amdhsa_uses_dynamic_stack 0
		.amdhsa_enable_private_segment 0
		.amdhsa_system_sgpr_workgroup_id_x 1
		.amdhsa_system_sgpr_workgroup_id_y 0
		.amdhsa_system_sgpr_workgroup_id_z 0
		.amdhsa_system_sgpr_workgroup_info 0
		.amdhsa_system_vgpr_workitem_id 0
		.amdhsa_next_free_vgpr 8
		.amdhsa_next_free_sgpr 34
		.amdhsa_accum_offset 8
		.amdhsa_reserve_vcc 1
		.amdhsa_float_round_mode_32 0
		.amdhsa_float_round_mode_16_64 0
		.amdhsa_float_denorm_mode_32 3
		.amdhsa_float_denorm_mode_16_64 3
		.amdhsa_dx10_clamp 1
		.amdhsa_ieee_mode 1
		.amdhsa_fp16_overflow 0
		.amdhsa_tg_split 0
		.amdhsa_exception_fp_ieee_invalid_op 0
		.amdhsa_exception_fp_denorm_src 0
		.amdhsa_exception_fp_ieee_div_zero 0
		.amdhsa_exception_fp_ieee_overflow 0
		.amdhsa_exception_fp_ieee_underflow 0
		.amdhsa_exception_fp_ieee_inexact 0
		.amdhsa_exception_int_div_zero 0
	.end_amdhsa_kernel
	.section	.text._ZN4vllm27concat_and_cache_mla_kernelIffLNS_18Fp8KVCacheDataTypeE0EEEvPKT_S4_PT0_PKliiiiiiiPKf,"axG",@progbits,_ZN4vllm27concat_and_cache_mla_kernelIffLNS_18Fp8KVCacheDataTypeE0EEEvPKT_S4_PT0_PKliiiiiiiPKf,comdat
.Lfunc_end20:
	.size	_ZN4vllm27concat_and_cache_mla_kernelIffLNS_18Fp8KVCacheDataTypeE0EEEvPKT_S4_PT0_PKliiiiiiiPKf, .Lfunc_end20-_ZN4vllm27concat_and_cache_mla_kernelIffLNS_18Fp8KVCacheDataTypeE0EEEvPKT_S4_PT0_PKliiiiiiiPKf
                                        ; -- End function
	.set _ZN4vllm27concat_and_cache_mla_kernelIffLNS_18Fp8KVCacheDataTypeE0EEEvPKT_S4_PT0_PKliiiiiiiPKf.num_vgpr, 8
	.set _ZN4vllm27concat_and_cache_mla_kernelIffLNS_18Fp8KVCacheDataTypeE0EEEvPKT_S4_PT0_PKliiiiiiiPKf.num_agpr, 0
	.set _ZN4vllm27concat_and_cache_mla_kernelIffLNS_18Fp8KVCacheDataTypeE0EEEvPKT_S4_PT0_PKliiiiiiiPKf.numbered_sgpr, 34
	.set _ZN4vllm27concat_and_cache_mla_kernelIffLNS_18Fp8KVCacheDataTypeE0EEEvPKT_S4_PT0_PKliiiiiiiPKf.num_named_barrier, 0
	.set _ZN4vllm27concat_and_cache_mla_kernelIffLNS_18Fp8KVCacheDataTypeE0EEEvPKT_S4_PT0_PKliiiiiiiPKf.private_seg_size, 0
	.set _ZN4vllm27concat_and_cache_mla_kernelIffLNS_18Fp8KVCacheDataTypeE0EEEvPKT_S4_PT0_PKliiiiiiiPKf.uses_vcc, 1
	.set _ZN4vllm27concat_and_cache_mla_kernelIffLNS_18Fp8KVCacheDataTypeE0EEEvPKT_S4_PT0_PKliiiiiiiPKf.uses_flat_scratch, 0
	.set _ZN4vllm27concat_and_cache_mla_kernelIffLNS_18Fp8KVCacheDataTypeE0EEEvPKT_S4_PT0_PKliiiiiiiPKf.has_dyn_sized_stack, 0
	.set _ZN4vllm27concat_and_cache_mla_kernelIffLNS_18Fp8KVCacheDataTypeE0EEEvPKT_S4_PT0_PKliiiiiiiPKf.has_recursion, 0
	.set _ZN4vllm27concat_and_cache_mla_kernelIffLNS_18Fp8KVCacheDataTypeE0EEEvPKT_S4_PT0_PKliiiiiiiPKf.has_indirect_call, 0
	.section	.AMDGPU.csdata,"",@progbits
; Kernel info:
; codeLenInByte = 1236
; TotalNumSgprs: 40
; NumVgprs: 8
; NumAgprs: 0
; TotalNumVgprs: 8
; ScratchSize: 0
; MemoryBound: 0
; FloatMode: 240
; IeeeMode: 1
; LDSByteSize: 0 bytes/workgroup (compile time only)
; SGPRBlocks: 4
; VGPRBlocks: 0
; NumSGPRsForWavesPerEU: 40
; NumVGPRsForWavesPerEU: 8
; AccumOffset: 8
; Occupancy: 8
; WaveLimiterHint : 1
; COMPUTE_PGM_RSRC2:SCRATCH_EN: 0
; COMPUTE_PGM_RSRC2:USER_SGPR: 2
; COMPUTE_PGM_RSRC2:TRAP_HANDLER: 0
; COMPUTE_PGM_RSRC2:TGID_X_EN: 1
; COMPUTE_PGM_RSRC2:TGID_Y_EN: 0
; COMPUTE_PGM_RSRC2:TGID_Z_EN: 0
; COMPUTE_PGM_RSRC2:TIDIG_COMP_CNT: 0
; COMPUTE_PGM_RSRC3_GFX90A:ACCUM_OFFSET: 1
; COMPUTE_PGM_RSRC3_GFX90A:TG_SPLIT: 0
	.section	.text._ZN4vllm27concat_and_cache_mla_kernelIttLNS_18Fp8KVCacheDataTypeE0EEEvPKT_S4_PT0_PKliiiiiiiPKf,"axG",@progbits,_ZN4vllm27concat_and_cache_mla_kernelIttLNS_18Fp8KVCacheDataTypeE0EEEvPKT_S4_PT0_PKliiiiiiiPKf,comdat
	.protected	_ZN4vllm27concat_and_cache_mla_kernelIttLNS_18Fp8KVCacheDataTypeE0EEEvPKT_S4_PT0_PKliiiiiiiPKf ; -- Begin function _ZN4vllm27concat_and_cache_mla_kernelIttLNS_18Fp8KVCacheDataTypeE0EEEvPKT_S4_PT0_PKliiiiiiiPKf
	.globl	_ZN4vllm27concat_and_cache_mla_kernelIttLNS_18Fp8KVCacheDataTypeE0EEEvPKT_S4_PT0_PKliiiiiiiPKf
	.p2align	8
	.type	_ZN4vllm27concat_and_cache_mla_kernelIttLNS_18Fp8KVCacheDataTypeE0EEEvPKT_S4_PT0_PKliiiiiiiPKf,@function
_ZN4vllm27concat_and_cache_mla_kernelIttLNS_18Fp8KVCacheDataTypeE0EEEvPKT_S4_PT0_PKliiiiiiiPKf: ; @_ZN4vllm27concat_and_cache_mla_kernelIttLNS_18Fp8KVCacheDataTypeE0EEEvPKT_S4_PT0_PKliiiiiiiPKf
; %bb.0:
	s_load_dwordx2 s[4:5], s[0:1], 0x18
	s_mov_b32 s3, 0
	s_lshl_b64 s[6:7], s[2:3], 3
	s_waitcnt lgkmcnt(0)
	s_add_u32 s4, s4, s6
	s_addc_u32 s5, s5, s7
	s_load_dwordx2 s[12:13], s[4:5], 0x0
	s_waitcnt lgkmcnt(0)
	v_cmp_lt_i64_e64 s[4:5], s[12:13], 0
	s_and_b64 vcc, exec, s[4:5]
	s_cbranch_vccnz .LBB21_10
; %bb.1:
	s_load_dwordx8 s[4:11], s[0:1], 0x20
	s_waitcnt lgkmcnt(0)
	s_ashr_i32 s11, s10, 31
	s_or_b64 s[14:15], s[12:13], s[10:11]
	s_mov_b32 s14, s3
	s_cmp_lg_u64 s[14:15], 0
	s_cbranch_scc0 .LBB21_11
; %bb.2:
	s_ashr_i32 s14, s11, 31
	s_add_u32 s16, s10, s14
	s_mov_b32 s15, s14
	s_addc_u32 s17, s11, s14
	s_xor_b64 s[16:17], s[16:17], s[14:15]
	v_cvt_f32_u32_e32 v1, s16
	v_cvt_f32_u32_e32 v2, s17
	s_sub_u32 s3, 0, s16
	s_subb_u32 s22, 0, s17
	v_fmamk_f32 v1, v2, 0x4f800000, v1
	v_rcp_f32_e32 v1, v1
	s_nop 0
	v_mul_f32_e32 v1, 0x5f7ffffc, v1
	v_mul_f32_e32 v2, 0x2f800000, v1
	v_trunc_f32_e32 v2, v2
	v_fmamk_f32 v1, v2, 0xcf800000, v1
	v_cvt_u32_f32_e32 v2, v2
	v_cvt_u32_f32_e32 v1, v1
	v_readfirstlane_b32 s23, v2
	v_readfirstlane_b32 s20, v1
	s_mul_i32 s21, s3, s23
	s_mul_hi_u32 s25, s3, s20
	s_mul_i32 s24, s22, s20
	s_add_i32 s21, s25, s21
	s_add_i32 s21, s21, s24
	s_mul_i32 s26, s3, s20
	s_mul_i32 s25, s20, s21
	s_mul_hi_u32 s27, s20, s26
	s_mul_hi_u32 s24, s20, s21
	s_add_u32 s25, s27, s25
	s_addc_u32 s24, 0, s24
	s_mul_hi_u32 s28, s23, s26
	s_mul_i32 s26, s23, s26
	s_add_u32 s25, s25, s26
	s_mul_hi_u32 s27, s23, s21
	s_addc_u32 s24, s24, s28
	s_addc_u32 s25, s27, 0
	s_mul_i32 s21, s23, s21
	s_add_u32 s21, s24, s21
	s_addc_u32 s24, 0, s25
	s_add_u32 s25, s20, s21
	s_cselect_b64 s[20:21], -1, 0
	s_cmp_lg_u64 s[20:21], 0
	s_addc_u32 s23, s23, s24
	s_mul_i32 s20, s3, s23
	s_mul_hi_u32 s21, s3, s25
	s_add_i32 s20, s21, s20
	s_mul_i32 s22, s22, s25
	s_add_i32 s20, s20, s22
	s_mul_i32 s3, s3, s25
	s_mul_hi_u32 s22, s23, s3
	s_mul_i32 s24, s23, s3
	s_mul_i32 s27, s25, s20
	s_mul_hi_u32 s3, s25, s3
	s_mul_hi_u32 s26, s25, s20
	s_add_u32 s3, s3, s27
	s_addc_u32 s26, 0, s26
	s_add_u32 s3, s3, s24
	s_mul_hi_u32 s21, s23, s20
	s_addc_u32 s3, s26, s22
	s_addc_u32 s21, s21, 0
	s_mul_i32 s20, s23, s20
	s_add_u32 s3, s3, s20
	s_addc_u32 s22, 0, s21
	s_add_u32 s3, s25, s3
	s_cselect_b64 s[20:21], -1, 0
	s_cmp_lg_u64 s[20:21], 0
	s_addc_u32 s24, s23, s22
	s_ashr_i32 s20, s13, 31
	s_add_u32 s22, s12, s20
	s_mov_b32 s21, s20
	s_addc_u32 s23, s13, s20
	s_xor_b64 s[22:23], s[22:23], s[20:21]
	s_mul_i32 s26, s22, s24
	s_mul_hi_u32 s27, s22, s3
	s_mul_hi_u32 s25, s22, s24
	s_add_u32 s26, s27, s26
	s_addc_u32 s25, 0, s25
	s_mul_hi_u32 s28, s23, s3
	s_mul_i32 s3, s23, s3
	s_add_u32 s3, s26, s3
	s_mul_hi_u32 s27, s23, s24
	s_addc_u32 s3, s25, s28
	s_addc_u32 s25, s27, 0
	s_mul_i32 s24, s23, s24
	s_add_u32 s3, s3, s24
	s_addc_u32 s28, 0, s25
	s_mul_i32 s24, s16, s28
	s_mul_hi_u32 s25, s16, s3
	s_add_i32 s24, s25, s24
	s_mul_i32 s25, s17, s3
	s_add_i32 s29, s24, s25
	s_sub_i32 s26, s23, s29
	s_mul_i32 s24, s16, s3
	s_sub_u32 s22, s22, s24
	s_cselect_b64 s[24:25], -1, 0
	s_cmp_lg_u64 s[24:25], 0
	s_subb_u32 s30, s26, s17
	s_sub_u32 s31, s22, s16
	s_cselect_b64 s[26:27], -1, 0
	s_cmp_lg_u64 s[26:27], 0
	s_subb_u32 s26, s30, 0
	s_cmp_ge_u32 s26, s17
	s_cselect_b32 s27, -1, 0
	s_cmp_ge_u32 s31, s16
	s_cselect_b32 s30, -1, 0
	s_cmp_eq_u32 s26, s17
	s_cselect_b32 s26, s30, s27
	s_add_u32 s27, s3, 1
	s_addc_u32 s30, s28, 0
	s_add_u32 s31, s3, 2
	s_addc_u32 s33, s28, 0
	s_cmp_lg_u32 s26, 0
	s_cselect_b32 s26, s31, s27
	s_cselect_b32 s27, s33, s30
	s_cmp_lg_u64 s[24:25], 0
	s_subb_u32 s23, s23, s29
	s_cmp_ge_u32 s23, s17
	s_cselect_b32 s24, -1, 0
	s_cmp_ge_u32 s22, s16
	s_cselect_b32 s16, -1, 0
	s_cmp_eq_u32 s23, s17
	s_cselect_b32 s16, s16, s24
	s_cmp_lg_u32 s16, 0
	s_cselect_b32 s17, s27, s28
	s_cselect_b32 s16, s26, s3
	s_xor_b64 s[14:15], s[20:21], s[14:15]
	s_xor_b64 s[16:17], s[16:17], s[14:15]
	s_sub_u32 s16, s16, s14
	s_subb_u32 s17, s17, s15
	s_load_dwordx2 s[14:15], s[0:1], 0x10
	s_cbranch_execnz .LBB21_4
.LBB21_3:
	v_cvt_f32_u32_e32 v1, s10
	s_sub_i32 s3, 0, s10
	s_mov_b32 s17, 0
	v_rcp_iflag_f32_e32 v1, v1
	s_nop 0
	v_mul_f32_e32 v1, 0x4f7ffffe, v1
	v_cvt_u32_f32_e32 v1, v1
	s_nop 0
	v_readfirstlane_b32 s16, v1
	s_mul_i32 s3, s3, s16
	s_mul_hi_u32 s3, s16, s3
	s_add_i32 s16, s16, s3
	s_mul_hi_u32 s3, s12, s16
	s_mul_i32 s18, s3, s10
	s_sub_i32 s18, s12, s18
	s_add_i32 s16, s3, 1
	s_sub_i32 s19, s18, s10
	s_cmp_ge_u32 s18, s10
	s_cselect_b32 s3, s16, s3
	s_cselect_b32 s18, s19, s18
	s_add_i32 s16, s3, 1
	s_cmp_ge_u32 s18, s10
	s_cselect_b32 s16, s16, s3
.LBB21_4:
	s_mul_i32 s3, s16, s11
	s_mul_hi_u32 s11, s16, s10
	s_load_dwordx2 s[18:19], s[0:1], 0x8
	s_add_i32 s3, s11, s3
	s_mul_i32 s11, s17, s10
	s_add_i32 s11, s3, s11
	s_mul_i32 s3, s16, s10
	s_sub_u32 s3, s12, s3
	s_subb_u32 s28, s13, s11
	v_cmp_gt_i32_e32 vcc, s8, v0
	s_mul_hi_u32 s29, s16, s4
	s_mul_i32 s30, s17, s4
	s_mul_i32 s10, s16, s4
	s_mul_hi_u32 s17, s3, s5
	s_mul_i32 s28, s28, s5
	s_mul_i32 s12, s3, s5
	s_and_saveexec_b64 s[20:21], vcc
	s_cbranch_execz .LBB21_7
; %bb.5:
	s_ashr_i32 s11, s6, 31
	s_mul_hi_u32 s13, s6, s2
	s_mul_i32 s24, s6, s2
	s_ashr_i32 s6, s4, 31
	s_mul_i32 s6, s16, s6
	s_load_dwordx2 s[22:23], s[0:1], 0x0
	s_mul_i32 s11, s11, s2
	s_add_i32 s6, s29, s6
	s_add_i32 s25, s13, s11
	s_add_i32 s11, s6, s30
	s_ashr_i32 s6, s5, 31
	s_mul_i32 s6, s3, s6
	s_add_i32 s6, s17, s6
	s_add_i32 s13, s6, s28
	s_lshl_b64 s[24:25], s[24:25], 1
	s_load_dword s6, s[0:1], 0x54
	s_waitcnt lgkmcnt(0)
	s_add_u32 s22, s22, s24
	s_addc_u32 s23, s23, s25
	s_lshl_b64 s[24:25], s[10:11], 1
	s_add_u32 s11, s14, s24
	s_addc_u32 s26, s15, s25
	s_lshl_b64 s[24:25], s[12:13], 1
	s_add_u32 s24, s11, s24
	s_addc_u32 s25, s26, s25
	s_and_b32 s6, s6, 0xffff
	s_mov_b64 s[26:27], 0
	v_mov_b32_e32 v2, v0
.LBB21_6:                               ; =>This Inner Loop Header: Depth=1
	v_ashrrev_i32_e32 v3, 31, v2
	v_lshlrev_b64 v[4:5], 1, v[2:3]
	v_lshl_add_u64 v[6:7], s[22:23], 0, v[4:5]
	global_load_ushort v1, v[6:7], off
	v_add_u32_e32 v2, s6, v2
	v_cmp_le_i32_e32 vcc, s8, v2
	v_lshl_add_u64 v[4:5], s[24:25], 0, v[4:5]
	s_or_b64 s[26:27], vcc, s[26:27]
	s_waitcnt vmcnt(0)
	global_store_short v[4:5], v1, off
	s_andn2_b64 exec, exec, s[26:27]
	s_cbranch_execnz .LBB21_6
.LBB21_7:
	s_or_b64 exec, exec, s[20:21]
	v_cmp_gt_i32_e32 vcc, s9, v0
	s_and_saveexec_b64 s[20:21], vcc
	s_cbranch_execz .LBB21_10
; %bb.8:
	s_ashr_i32 s6, s7, 31
	s_mul_hi_u32 s11, s7, s2
	s_mul_i32 s6, s6, s2
	s_mul_i32 s20, s7, s2
	s_ashr_i32 s2, s4, 31
	s_mul_i32 s2, s16, s2
	s_add_i32 s2, s29, s2
	s_add_i32 s21, s11, s6
	;; [unrolled: 1-line block ×3, first 2 shown]
	s_ashr_i32 s2, s5, 31
	s_mul_i32 s3, s3, s2
	s_add_i32 s2, s17, s3
	s_add_i32 s13, s2, s28
	s_ashr_i32 s5, s8, 31
	s_lshl_b64 s[2:3], s[20:21], 1
	s_waitcnt lgkmcnt(0)
	s_add_u32 s2, s18, s2
	s_addc_u32 s3, s19, s3
	s_lshl_b64 s[6:7], s[10:11], 1
	s_mov_b32 s4, s8
	s_add_u32 s8, s14, s6
	s_addc_u32 s10, s15, s7
	s_lshl_b64 s[6:7], s[12:13], 1
	s_add_u32 s6, s8, s6
	s_load_dword s8, s[0:1], 0x54
	s_addc_u32 s7, s10, s7
	s_lshl_b64 s[0:1], s[4:5], 1
	s_add_u32 s0, s6, s0
	s_addc_u32 s1, s7, s1
	s_waitcnt lgkmcnt(0)
	s_and_b32 s6, s8, 0xffff
	s_mov_b64 s[4:5], 0
.LBB21_9:                               ; =>This Inner Loop Header: Depth=1
	v_ashrrev_i32_e32 v1, 31, v0
	v_lshlrev_b64 v[2:3], 1, v[0:1]
	v_lshl_add_u64 v[4:5], s[2:3], 0, v[2:3]
	global_load_ushort v1, v[4:5], off
	v_add_u32_e32 v0, s6, v0
	v_cmp_le_i32_e32 vcc, s9, v0
	v_lshl_add_u64 v[2:3], s[0:1], 0, v[2:3]
	s_or_b64 s[4:5], vcc, s[4:5]
	s_waitcnt vmcnt(0)
	global_store_short v[2:3], v1, off
	s_andn2_b64 exec, exec, s[4:5]
	s_cbranch_execnz .LBB21_9
.LBB21_10:
	s_endpgm
.LBB21_11:
                                        ; implicit-def: $sgpr16_sgpr17
	s_load_dwordx2 s[14:15], s[0:1], 0x10
	s_branch .LBB21_3
	.section	.rodata,"a",@progbits
	.p2align	6, 0x0
	.amdhsa_kernel _ZN4vllm27concat_and_cache_mla_kernelIttLNS_18Fp8KVCacheDataTypeE0EEEvPKT_S4_PT0_PKliiiiiiiPKf
		.amdhsa_group_segment_fixed_size 0
		.amdhsa_private_segment_fixed_size 0
		.amdhsa_kernarg_size 328
		.amdhsa_user_sgpr_count 2
		.amdhsa_user_sgpr_dispatch_ptr 0
		.amdhsa_user_sgpr_queue_ptr 0
		.amdhsa_user_sgpr_kernarg_segment_ptr 1
		.amdhsa_user_sgpr_dispatch_id 0
		.amdhsa_user_sgpr_kernarg_preload_length 0
		.amdhsa_user_sgpr_kernarg_preload_offset 0
		.amdhsa_user_sgpr_private_segment_size 0
		.amdhsa_uses_dynamic_stack 0
		.amdhsa_enable_private_segment 0
		.amdhsa_system_sgpr_workgroup_id_x 1
		.amdhsa_system_sgpr_workgroup_id_y 0
		.amdhsa_system_sgpr_workgroup_id_z 0
		.amdhsa_system_sgpr_workgroup_info 0
		.amdhsa_system_vgpr_workitem_id 0
		.amdhsa_next_free_vgpr 8
		.amdhsa_next_free_sgpr 34
		.amdhsa_accum_offset 8
		.amdhsa_reserve_vcc 1
		.amdhsa_float_round_mode_32 0
		.amdhsa_float_round_mode_16_64 0
		.amdhsa_float_denorm_mode_32 3
		.amdhsa_float_denorm_mode_16_64 3
		.amdhsa_dx10_clamp 1
		.amdhsa_ieee_mode 1
		.amdhsa_fp16_overflow 0
		.amdhsa_tg_split 0
		.amdhsa_exception_fp_ieee_invalid_op 0
		.amdhsa_exception_fp_denorm_src 0
		.amdhsa_exception_fp_ieee_div_zero 0
		.amdhsa_exception_fp_ieee_overflow 0
		.amdhsa_exception_fp_ieee_underflow 0
		.amdhsa_exception_fp_ieee_inexact 0
		.amdhsa_exception_int_div_zero 0
	.end_amdhsa_kernel
	.section	.text._ZN4vllm27concat_and_cache_mla_kernelIttLNS_18Fp8KVCacheDataTypeE0EEEvPKT_S4_PT0_PKliiiiiiiPKf,"axG",@progbits,_ZN4vllm27concat_and_cache_mla_kernelIttLNS_18Fp8KVCacheDataTypeE0EEEvPKT_S4_PT0_PKliiiiiiiPKf,comdat
.Lfunc_end21:
	.size	_ZN4vllm27concat_and_cache_mla_kernelIttLNS_18Fp8KVCacheDataTypeE0EEEvPKT_S4_PT0_PKliiiiiiiPKf, .Lfunc_end21-_ZN4vllm27concat_and_cache_mla_kernelIttLNS_18Fp8KVCacheDataTypeE0EEEvPKT_S4_PT0_PKliiiiiiiPKf
                                        ; -- End function
	.set _ZN4vllm27concat_and_cache_mla_kernelIttLNS_18Fp8KVCacheDataTypeE0EEEvPKT_S4_PT0_PKliiiiiiiPKf.num_vgpr, 8
	.set _ZN4vllm27concat_and_cache_mla_kernelIttLNS_18Fp8KVCacheDataTypeE0EEEvPKT_S4_PT0_PKliiiiiiiPKf.num_agpr, 0
	.set _ZN4vllm27concat_and_cache_mla_kernelIttLNS_18Fp8KVCacheDataTypeE0EEEvPKT_S4_PT0_PKliiiiiiiPKf.numbered_sgpr, 34
	.set _ZN4vllm27concat_and_cache_mla_kernelIttLNS_18Fp8KVCacheDataTypeE0EEEvPKT_S4_PT0_PKliiiiiiiPKf.num_named_barrier, 0
	.set _ZN4vllm27concat_and_cache_mla_kernelIttLNS_18Fp8KVCacheDataTypeE0EEEvPKT_S4_PT0_PKliiiiiiiPKf.private_seg_size, 0
	.set _ZN4vllm27concat_and_cache_mla_kernelIttLNS_18Fp8KVCacheDataTypeE0EEEvPKT_S4_PT0_PKliiiiiiiPKf.uses_vcc, 1
	.set _ZN4vllm27concat_and_cache_mla_kernelIttLNS_18Fp8KVCacheDataTypeE0EEEvPKT_S4_PT0_PKliiiiiiiPKf.uses_flat_scratch, 0
	.set _ZN4vllm27concat_and_cache_mla_kernelIttLNS_18Fp8KVCacheDataTypeE0EEEvPKT_S4_PT0_PKliiiiiiiPKf.has_dyn_sized_stack, 0
	.set _ZN4vllm27concat_and_cache_mla_kernelIttLNS_18Fp8KVCacheDataTypeE0EEEvPKT_S4_PT0_PKliiiiiiiPKf.has_recursion, 0
	.set _ZN4vllm27concat_and_cache_mla_kernelIttLNS_18Fp8KVCacheDataTypeE0EEEvPKT_S4_PT0_PKliiiiiiiPKf.has_indirect_call, 0
	.section	.AMDGPU.csdata,"",@progbits
; Kernel info:
; codeLenInByte = 1236
; TotalNumSgprs: 40
; NumVgprs: 8
; NumAgprs: 0
; TotalNumVgprs: 8
; ScratchSize: 0
; MemoryBound: 0
; FloatMode: 240
; IeeeMode: 1
; LDSByteSize: 0 bytes/workgroup (compile time only)
; SGPRBlocks: 4
; VGPRBlocks: 0
; NumSGPRsForWavesPerEU: 40
; NumVGPRsForWavesPerEU: 8
; AccumOffset: 8
; Occupancy: 8
; WaveLimiterHint : 1
; COMPUTE_PGM_RSRC2:SCRATCH_EN: 0
; COMPUTE_PGM_RSRC2:USER_SGPR: 2
; COMPUTE_PGM_RSRC2:TRAP_HANDLER: 0
; COMPUTE_PGM_RSRC2:TGID_X_EN: 1
; COMPUTE_PGM_RSRC2:TGID_Y_EN: 0
; COMPUTE_PGM_RSRC2:TGID_Z_EN: 0
; COMPUTE_PGM_RSRC2:TIDIG_COMP_CNT: 0
; COMPUTE_PGM_RSRC3_GFX90A:ACCUM_OFFSET: 1
; COMPUTE_PGM_RSRC3_GFX90A:TG_SPLIT: 0
	.section	.text._ZN4vllm27concat_and_cache_mla_kernelI14__hip_bfloat16S1_LNS_18Fp8KVCacheDataTypeE0EEEvPKT_S5_PT0_PKliiiiiiiPKf,"axG",@progbits,_ZN4vllm27concat_and_cache_mla_kernelI14__hip_bfloat16S1_LNS_18Fp8KVCacheDataTypeE0EEEvPKT_S5_PT0_PKliiiiiiiPKf,comdat
	.protected	_ZN4vllm27concat_and_cache_mla_kernelI14__hip_bfloat16S1_LNS_18Fp8KVCacheDataTypeE0EEEvPKT_S5_PT0_PKliiiiiiiPKf ; -- Begin function _ZN4vllm27concat_and_cache_mla_kernelI14__hip_bfloat16S1_LNS_18Fp8KVCacheDataTypeE0EEEvPKT_S5_PT0_PKliiiiiiiPKf
	.globl	_ZN4vllm27concat_and_cache_mla_kernelI14__hip_bfloat16S1_LNS_18Fp8KVCacheDataTypeE0EEEvPKT_S5_PT0_PKliiiiiiiPKf
	.p2align	8
	.type	_ZN4vllm27concat_and_cache_mla_kernelI14__hip_bfloat16S1_LNS_18Fp8KVCacheDataTypeE0EEEvPKT_S5_PT0_PKliiiiiiiPKf,@function
_ZN4vllm27concat_and_cache_mla_kernelI14__hip_bfloat16S1_LNS_18Fp8KVCacheDataTypeE0EEEvPKT_S5_PT0_PKliiiiiiiPKf: ; @_ZN4vllm27concat_and_cache_mla_kernelI14__hip_bfloat16S1_LNS_18Fp8KVCacheDataTypeE0EEEvPKT_S5_PT0_PKliiiiiiiPKf
; %bb.0:
	s_load_dwordx2 s[4:5], s[0:1], 0x18
	s_mov_b32 s3, 0
	s_lshl_b64 s[6:7], s[2:3], 3
	s_waitcnt lgkmcnt(0)
	s_add_u32 s4, s4, s6
	s_addc_u32 s5, s5, s7
	s_load_dwordx2 s[12:13], s[4:5], 0x0
	s_waitcnt lgkmcnt(0)
	v_cmp_lt_i64_e64 s[4:5], s[12:13], 0
	s_and_b64 vcc, exec, s[4:5]
	s_cbranch_vccnz .LBB22_10
; %bb.1:
	s_load_dwordx8 s[4:11], s[0:1], 0x20
	s_waitcnt lgkmcnt(0)
	s_ashr_i32 s11, s10, 31
	s_or_b64 s[14:15], s[12:13], s[10:11]
	s_mov_b32 s14, s3
	s_cmp_lg_u64 s[14:15], 0
	s_cbranch_scc0 .LBB22_11
; %bb.2:
	s_ashr_i32 s14, s11, 31
	s_add_u32 s16, s10, s14
	s_mov_b32 s15, s14
	s_addc_u32 s17, s11, s14
	s_xor_b64 s[16:17], s[16:17], s[14:15]
	v_cvt_f32_u32_e32 v1, s16
	v_cvt_f32_u32_e32 v2, s17
	s_sub_u32 s3, 0, s16
	s_subb_u32 s22, 0, s17
	v_fmamk_f32 v1, v2, 0x4f800000, v1
	v_rcp_f32_e32 v1, v1
	s_nop 0
	v_mul_f32_e32 v1, 0x5f7ffffc, v1
	v_mul_f32_e32 v2, 0x2f800000, v1
	v_trunc_f32_e32 v2, v2
	v_fmamk_f32 v1, v2, 0xcf800000, v1
	v_cvt_u32_f32_e32 v2, v2
	v_cvt_u32_f32_e32 v1, v1
	v_readfirstlane_b32 s23, v2
	v_readfirstlane_b32 s20, v1
	s_mul_i32 s21, s3, s23
	s_mul_hi_u32 s25, s3, s20
	s_mul_i32 s24, s22, s20
	s_add_i32 s21, s25, s21
	s_add_i32 s21, s21, s24
	s_mul_i32 s26, s3, s20
	s_mul_i32 s25, s20, s21
	s_mul_hi_u32 s27, s20, s26
	s_mul_hi_u32 s24, s20, s21
	s_add_u32 s25, s27, s25
	s_addc_u32 s24, 0, s24
	s_mul_hi_u32 s28, s23, s26
	s_mul_i32 s26, s23, s26
	s_add_u32 s25, s25, s26
	s_mul_hi_u32 s27, s23, s21
	s_addc_u32 s24, s24, s28
	s_addc_u32 s25, s27, 0
	s_mul_i32 s21, s23, s21
	s_add_u32 s21, s24, s21
	s_addc_u32 s24, 0, s25
	s_add_u32 s25, s20, s21
	s_cselect_b64 s[20:21], -1, 0
	s_cmp_lg_u64 s[20:21], 0
	s_addc_u32 s23, s23, s24
	s_mul_i32 s20, s3, s23
	s_mul_hi_u32 s21, s3, s25
	s_add_i32 s20, s21, s20
	s_mul_i32 s22, s22, s25
	s_add_i32 s20, s20, s22
	s_mul_i32 s3, s3, s25
	s_mul_hi_u32 s22, s23, s3
	s_mul_i32 s24, s23, s3
	s_mul_i32 s27, s25, s20
	s_mul_hi_u32 s3, s25, s3
	s_mul_hi_u32 s26, s25, s20
	s_add_u32 s3, s3, s27
	s_addc_u32 s26, 0, s26
	s_add_u32 s3, s3, s24
	s_mul_hi_u32 s21, s23, s20
	s_addc_u32 s3, s26, s22
	s_addc_u32 s21, s21, 0
	s_mul_i32 s20, s23, s20
	s_add_u32 s3, s3, s20
	s_addc_u32 s22, 0, s21
	s_add_u32 s3, s25, s3
	s_cselect_b64 s[20:21], -1, 0
	s_cmp_lg_u64 s[20:21], 0
	s_addc_u32 s24, s23, s22
	s_ashr_i32 s20, s13, 31
	s_add_u32 s22, s12, s20
	s_mov_b32 s21, s20
	s_addc_u32 s23, s13, s20
	s_xor_b64 s[22:23], s[22:23], s[20:21]
	s_mul_i32 s26, s22, s24
	s_mul_hi_u32 s27, s22, s3
	s_mul_hi_u32 s25, s22, s24
	s_add_u32 s26, s27, s26
	s_addc_u32 s25, 0, s25
	s_mul_hi_u32 s28, s23, s3
	s_mul_i32 s3, s23, s3
	s_add_u32 s3, s26, s3
	s_mul_hi_u32 s27, s23, s24
	s_addc_u32 s3, s25, s28
	s_addc_u32 s25, s27, 0
	s_mul_i32 s24, s23, s24
	s_add_u32 s3, s3, s24
	s_addc_u32 s28, 0, s25
	s_mul_i32 s24, s16, s28
	s_mul_hi_u32 s25, s16, s3
	s_add_i32 s24, s25, s24
	s_mul_i32 s25, s17, s3
	s_add_i32 s29, s24, s25
	s_sub_i32 s26, s23, s29
	s_mul_i32 s24, s16, s3
	s_sub_u32 s22, s22, s24
	s_cselect_b64 s[24:25], -1, 0
	s_cmp_lg_u64 s[24:25], 0
	s_subb_u32 s30, s26, s17
	s_sub_u32 s31, s22, s16
	s_cselect_b64 s[26:27], -1, 0
	s_cmp_lg_u64 s[26:27], 0
	s_subb_u32 s26, s30, 0
	s_cmp_ge_u32 s26, s17
	s_cselect_b32 s27, -1, 0
	s_cmp_ge_u32 s31, s16
	s_cselect_b32 s30, -1, 0
	s_cmp_eq_u32 s26, s17
	s_cselect_b32 s26, s30, s27
	s_add_u32 s27, s3, 1
	s_addc_u32 s30, s28, 0
	s_add_u32 s31, s3, 2
	s_addc_u32 s33, s28, 0
	s_cmp_lg_u32 s26, 0
	s_cselect_b32 s26, s31, s27
	s_cselect_b32 s27, s33, s30
	s_cmp_lg_u64 s[24:25], 0
	s_subb_u32 s23, s23, s29
	s_cmp_ge_u32 s23, s17
	s_cselect_b32 s24, -1, 0
	s_cmp_ge_u32 s22, s16
	s_cselect_b32 s16, -1, 0
	s_cmp_eq_u32 s23, s17
	s_cselect_b32 s16, s16, s24
	s_cmp_lg_u32 s16, 0
	s_cselect_b32 s17, s27, s28
	s_cselect_b32 s16, s26, s3
	s_xor_b64 s[14:15], s[20:21], s[14:15]
	s_xor_b64 s[16:17], s[16:17], s[14:15]
	s_sub_u32 s16, s16, s14
	s_subb_u32 s17, s17, s15
	s_load_dwordx2 s[14:15], s[0:1], 0x10
	s_cbranch_execnz .LBB22_4
.LBB22_3:
	v_cvt_f32_u32_e32 v1, s10
	s_sub_i32 s3, 0, s10
	s_mov_b32 s17, 0
	v_rcp_iflag_f32_e32 v1, v1
	s_nop 0
	v_mul_f32_e32 v1, 0x4f7ffffe, v1
	v_cvt_u32_f32_e32 v1, v1
	s_nop 0
	v_readfirstlane_b32 s16, v1
	s_mul_i32 s3, s3, s16
	s_mul_hi_u32 s3, s16, s3
	s_add_i32 s16, s16, s3
	s_mul_hi_u32 s3, s12, s16
	s_mul_i32 s18, s3, s10
	s_sub_i32 s18, s12, s18
	s_add_i32 s16, s3, 1
	s_sub_i32 s19, s18, s10
	s_cmp_ge_u32 s18, s10
	s_cselect_b32 s3, s16, s3
	s_cselect_b32 s18, s19, s18
	s_add_i32 s16, s3, 1
	s_cmp_ge_u32 s18, s10
	s_cselect_b32 s16, s16, s3
.LBB22_4:
	s_mul_i32 s3, s16, s11
	s_mul_hi_u32 s11, s16, s10
	s_load_dwordx2 s[18:19], s[0:1], 0x8
	s_add_i32 s3, s11, s3
	s_mul_i32 s11, s17, s10
	s_add_i32 s11, s3, s11
	s_mul_i32 s3, s16, s10
	s_sub_u32 s3, s12, s3
	s_subb_u32 s28, s13, s11
	v_cmp_gt_i32_e32 vcc, s8, v0
	s_mul_hi_u32 s29, s16, s4
	s_mul_i32 s30, s17, s4
	s_mul_i32 s10, s16, s4
	s_mul_hi_u32 s17, s3, s5
	s_mul_i32 s28, s28, s5
	s_mul_i32 s12, s3, s5
	s_and_saveexec_b64 s[20:21], vcc
	s_cbranch_execz .LBB22_7
; %bb.5:
	s_ashr_i32 s11, s6, 31
	s_mul_hi_u32 s13, s6, s2
	s_mul_i32 s24, s6, s2
	s_ashr_i32 s6, s4, 31
	s_mul_i32 s6, s16, s6
	s_load_dwordx2 s[22:23], s[0:1], 0x0
	s_mul_i32 s11, s11, s2
	s_add_i32 s6, s29, s6
	s_add_i32 s25, s13, s11
	s_add_i32 s11, s6, s30
	s_ashr_i32 s6, s5, 31
	s_mul_i32 s6, s3, s6
	s_add_i32 s6, s17, s6
	s_add_i32 s13, s6, s28
	s_lshl_b64 s[24:25], s[24:25], 1
	s_load_dword s6, s[0:1], 0x54
	s_waitcnt lgkmcnt(0)
	s_add_u32 s22, s22, s24
	s_addc_u32 s23, s23, s25
	s_lshl_b64 s[24:25], s[10:11], 1
	s_add_u32 s11, s14, s24
	s_addc_u32 s26, s15, s25
	s_lshl_b64 s[24:25], s[12:13], 1
	s_add_u32 s24, s11, s24
	s_addc_u32 s25, s26, s25
	s_and_b32 s6, s6, 0xffff
	s_mov_b64 s[26:27], 0
	v_mov_b32_e32 v2, v0
.LBB22_6:                               ; =>This Inner Loop Header: Depth=1
	v_ashrrev_i32_e32 v3, 31, v2
	v_lshlrev_b64 v[4:5], 1, v[2:3]
	v_lshl_add_u64 v[6:7], s[22:23], 0, v[4:5]
	global_load_ushort v1, v[6:7], off
	v_add_u32_e32 v2, s6, v2
	v_cmp_le_i32_e32 vcc, s8, v2
	v_lshl_add_u64 v[4:5], s[24:25], 0, v[4:5]
	s_or_b64 s[26:27], vcc, s[26:27]
	s_waitcnt vmcnt(0)
	global_store_short v[4:5], v1, off
	s_andn2_b64 exec, exec, s[26:27]
	s_cbranch_execnz .LBB22_6
.LBB22_7:
	s_or_b64 exec, exec, s[20:21]
	v_cmp_gt_i32_e32 vcc, s9, v0
	s_and_saveexec_b64 s[20:21], vcc
	s_cbranch_execz .LBB22_10
; %bb.8:
	s_ashr_i32 s6, s7, 31
	s_mul_hi_u32 s11, s7, s2
	s_mul_i32 s6, s6, s2
	s_mul_i32 s20, s7, s2
	s_ashr_i32 s2, s4, 31
	s_mul_i32 s2, s16, s2
	s_add_i32 s2, s29, s2
	s_add_i32 s21, s11, s6
	;; [unrolled: 1-line block ×3, first 2 shown]
	s_ashr_i32 s2, s5, 31
	s_mul_i32 s3, s3, s2
	s_add_i32 s2, s17, s3
	s_add_i32 s13, s2, s28
	s_ashr_i32 s5, s8, 31
	s_lshl_b64 s[2:3], s[20:21], 1
	s_waitcnt lgkmcnt(0)
	s_add_u32 s2, s18, s2
	s_addc_u32 s3, s19, s3
	s_lshl_b64 s[6:7], s[10:11], 1
	s_mov_b32 s4, s8
	s_add_u32 s8, s14, s6
	s_addc_u32 s10, s15, s7
	s_lshl_b64 s[6:7], s[12:13], 1
	s_add_u32 s6, s8, s6
	s_load_dword s8, s[0:1], 0x54
	s_addc_u32 s7, s10, s7
	s_lshl_b64 s[0:1], s[4:5], 1
	s_add_u32 s0, s6, s0
	s_addc_u32 s1, s7, s1
	s_waitcnt lgkmcnt(0)
	s_and_b32 s6, s8, 0xffff
	s_mov_b64 s[4:5], 0
.LBB22_9:                               ; =>This Inner Loop Header: Depth=1
	v_ashrrev_i32_e32 v1, 31, v0
	v_lshlrev_b64 v[2:3], 1, v[0:1]
	v_lshl_add_u64 v[4:5], s[2:3], 0, v[2:3]
	global_load_ushort v1, v[4:5], off
	v_add_u32_e32 v0, s6, v0
	v_cmp_le_i32_e32 vcc, s9, v0
	v_lshl_add_u64 v[2:3], s[0:1], 0, v[2:3]
	s_or_b64 s[4:5], vcc, s[4:5]
	s_waitcnt vmcnt(0)
	global_store_short v[2:3], v1, off
	s_andn2_b64 exec, exec, s[4:5]
	s_cbranch_execnz .LBB22_9
.LBB22_10:
	s_endpgm
.LBB22_11:
                                        ; implicit-def: $sgpr16_sgpr17
	s_load_dwordx2 s[14:15], s[0:1], 0x10
	s_branch .LBB22_3
	.section	.rodata,"a",@progbits
	.p2align	6, 0x0
	.amdhsa_kernel _ZN4vllm27concat_and_cache_mla_kernelI14__hip_bfloat16S1_LNS_18Fp8KVCacheDataTypeE0EEEvPKT_S5_PT0_PKliiiiiiiPKf
		.amdhsa_group_segment_fixed_size 0
		.amdhsa_private_segment_fixed_size 0
		.amdhsa_kernarg_size 328
		.amdhsa_user_sgpr_count 2
		.amdhsa_user_sgpr_dispatch_ptr 0
		.amdhsa_user_sgpr_queue_ptr 0
		.amdhsa_user_sgpr_kernarg_segment_ptr 1
		.amdhsa_user_sgpr_dispatch_id 0
		.amdhsa_user_sgpr_kernarg_preload_length 0
		.amdhsa_user_sgpr_kernarg_preload_offset 0
		.amdhsa_user_sgpr_private_segment_size 0
		.amdhsa_uses_dynamic_stack 0
		.amdhsa_enable_private_segment 0
		.amdhsa_system_sgpr_workgroup_id_x 1
		.amdhsa_system_sgpr_workgroup_id_y 0
		.amdhsa_system_sgpr_workgroup_id_z 0
		.amdhsa_system_sgpr_workgroup_info 0
		.amdhsa_system_vgpr_workitem_id 0
		.amdhsa_next_free_vgpr 8
		.amdhsa_next_free_sgpr 34
		.amdhsa_accum_offset 8
		.amdhsa_reserve_vcc 1
		.amdhsa_float_round_mode_32 0
		.amdhsa_float_round_mode_16_64 0
		.amdhsa_float_denorm_mode_32 3
		.amdhsa_float_denorm_mode_16_64 3
		.amdhsa_dx10_clamp 1
		.amdhsa_ieee_mode 1
		.amdhsa_fp16_overflow 0
		.amdhsa_tg_split 0
		.amdhsa_exception_fp_ieee_invalid_op 0
		.amdhsa_exception_fp_denorm_src 0
		.amdhsa_exception_fp_ieee_div_zero 0
		.amdhsa_exception_fp_ieee_overflow 0
		.amdhsa_exception_fp_ieee_underflow 0
		.amdhsa_exception_fp_ieee_inexact 0
		.amdhsa_exception_int_div_zero 0
	.end_amdhsa_kernel
	.section	.text._ZN4vllm27concat_and_cache_mla_kernelI14__hip_bfloat16S1_LNS_18Fp8KVCacheDataTypeE0EEEvPKT_S5_PT0_PKliiiiiiiPKf,"axG",@progbits,_ZN4vllm27concat_and_cache_mla_kernelI14__hip_bfloat16S1_LNS_18Fp8KVCacheDataTypeE0EEEvPKT_S5_PT0_PKliiiiiiiPKf,comdat
.Lfunc_end22:
	.size	_ZN4vllm27concat_and_cache_mla_kernelI14__hip_bfloat16S1_LNS_18Fp8KVCacheDataTypeE0EEEvPKT_S5_PT0_PKliiiiiiiPKf, .Lfunc_end22-_ZN4vllm27concat_and_cache_mla_kernelI14__hip_bfloat16S1_LNS_18Fp8KVCacheDataTypeE0EEEvPKT_S5_PT0_PKliiiiiiiPKf
                                        ; -- End function
	.set _ZN4vllm27concat_and_cache_mla_kernelI14__hip_bfloat16S1_LNS_18Fp8KVCacheDataTypeE0EEEvPKT_S5_PT0_PKliiiiiiiPKf.num_vgpr, 8
	.set _ZN4vllm27concat_and_cache_mla_kernelI14__hip_bfloat16S1_LNS_18Fp8KVCacheDataTypeE0EEEvPKT_S5_PT0_PKliiiiiiiPKf.num_agpr, 0
	.set _ZN4vllm27concat_and_cache_mla_kernelI14__hip_bfloat16S1_LNS_18Fp8KVCacheDataTypeE0EEEvPKT_S5_PT0_PKliiiiiiiPKf.numbered_sgpr, 34
	.set _ZN4vllm27concat_and_cache_mla_kernelI14__hip_bfloat16S1_LNS_18Fp8KVCacheDataTypeE0EEEvPKT_S5_PT0_PKliiiiiiiPKf.num_named_barrier, 0
	.set _ZN4vllm27concat_and_cache_mla_kernelI14__hip_bfloat16S1_LNS_18Fp8KVCacheDataTypeE0EEEvPKT_S5_PT0_PKliiiiiiiPKf.private_seg_size, 0
	.set _ZN4vllm27concat_and_cache_mla_kernelI14__hip_bfloat16S1_LNS_18Fp8KVCacheDataTypeE0EEEvPKT_S5_PT0_PKliiiiiiiPKf.uses_vcc, 1
	.set _ZN4vllm27concat_and_cache_mla_kernelI14__hip_bfloat16S1_LNS_18Fp8KVCacheDataTypeE0EEEvPKT_S5_PT0_PKliiiiiiiPKf.uses_flat_scratch, 0
	.set _ZN4vllm27concat_and_cache_mla_kernelI14__hip_bfloat16S1_LNS_18Fp8KVCacheDataTypeE0EEEvPKT_S5_PT0_PKliiiiiiiPKf.has_dyn_sized_stack, 0
	.set _ZN4vllm27concat_and_cache_mla_kernelI14__hip_bfloat16S1_LNS_18Fp8KVCacheDataTypeE0EEEvPKT_S5_PT0_PKliiiiiiiPKf.has_recursion, 0
	.set _ZN4vllm27concat_and_cache_mla_kernelI14__hip_bfloat16S1_LNS_18Fp8KVCacheDataTypeE0EEEvPKT_S5_PT0_PKliiiiiiiPKf.has_indirect_call, 0
	.section	.AMDGPU.csdata,"",@progbits
; Kernel info:
; codeLenInByte = 1236
; TotalNumSgprs: 40
; NumVgprs: 8
; NumAgprs: 0
; TotalNumVgprs: 8
; ScratchSize: 0
; MemoryBound: 0
; FloatMode: 240
; IeeeMode: 1
; LDSByteSize: 0 bytes/workgroup (compile time only)
; SGPRBlocks: 4
; VGPRBlocks: 0
; NumSGPRsForWavesPerEU: 40
; NumVGPRsForWavesPerEU: 8
; AccumOffset: 8
; Occupancy: 8
; WaveLimiterHint : 1
; COMPUTE_PGM_RSRC2:SCRATCH_EN: 0
; COMPUTE_PGM_RSRC2:USER_SGPR: 2
; COMPUTE_PGM_RSRC2:TRAP_HANDLER: 0
; COMPUTE_PGM_RSRC2:TGID_X_EN: 1
; COMPUTE_PGM_RSRC2:TGID_Y_EN: 0
; COMPUTE_PGM_RSRC2:TGID_Z_EN: 0
; COMPUTE_PGM_RSRC2:TIDIG_COMP_CNT: 0
; COMPUTE_PGM_RSRC3_GFX90A:ACCUM_OFFSET: 1
; COMPUTE_PGM_RSRC3_GFX90A:TG_SPLIT: 0
	.section	.text._ZN4vllm27concat_and_cache_mla_kernelIfhLNS_18Fp8KVCacheDataTypeE1EEEvPKT_S4_PT0_PKliiiiiiiPKf,"axG",@progbits,_ZN4vllm27concat_and_cache_mla_kernelIfhLNS_18Fp8KVCacheDataTypeE1EEEvPKT_S4_PT0_PKliiiiiiiPKf,comdat
	.protected	_ZN4vllm27concat_and_cache_mla_kernelIfhLNS_18Fp8KVCacheDataTypeE1EEEvPKT_S4_PT0_PKliiiiiiiPKf ; -- Begin function _ZN4vllm27concat_and_cache_mla_kernelIfhLNS_18Fp8KVCacheDataTypeE1EEEvPKT_S4_PT0_PKliiiiiiiPKf
	.globl	_ZN4vllm27concat_and_cache_mla_kernelIfhLNS_18Fp8KVCacheDataTypeE1EEEvPKT_S4_PT0_PKliiiiiiiPKf
	.p2align	8
	.type	_ZN4vllm27concat_and_cache_mla_kernelIfhLNS_18Fp8KVCacheDataTypeE1EEEvPKT_S4_PT0_PKliiiiiiiPKf,@function
_ZN4vllm27concat_and_cache_mla_kernelIfhLNS_18Fp8KVCacheDataTypeE1EEEvPKT_S4_PT0_PKliiiiiiiPKf: ; @_ZN4vllm27concat_and_cache_mla_kernelIfhLNS_18Fp8KVCacheDataTypeE1EEEvPKT_S4_PT0_PKliiiiiiiPKf
; %bb.0:
	s_load_dwordx2 s[4:5], s[0:1], 0x18
	s_mov_b32 s3, 0
	s_lshl_b64 s[6:7], s[2:3], 3
	s_waitcnt lgkmcnt(0)
	s_add_u32 s4, s4, s6
	s_addc_u32 s5, s5, s7
	s_load_dwordx2 s[12:13], s[4:5], 0x0
	s_waitcnt lgkmcnt(0)
	v_cmp_lt_i64_e64 s[4:5], s[12:13], 0
	s_and_b64 vcc, exec, s[4:5]
	s_cbranch_vccnz .LBB23_10
; %bb.1:
	s_load_dwordx8 s[4:11], s[0:1], 0x20
	s_waitcnt lgkmcnt(0)
	s_ashr_i32 s11, s10, 31
	s_or_b64 s[14:15], s[12:13], s[10:11]
	s_mov_b32 s14, s3
	s_cmp_lg_u64 s[14:15], 0
	s_cbranch_scc0 .LBB23_11
; %bb.2:
	s_ashr_i32 s14, s11, 31
	s_add_u32 s16, s10, s14
	s_mov_b32 s15, s14
	s_addc_u32 s17, s11, s14
	s_xor_b64 s[16:17], s[16:17], s[14:15]
	v_cvt_f32_u32_e32 v1, s16
	v_cvt_f32_u32_e32 v2, s17
	s_sub_u32 s3, 0, s16
	s_subb_u32 s22, 0, s17
	v_fmamk_f32 v1, v2, 0x4f800000, v1
	v_rcp_f32_e32 v1, v1
	s_nop 0
	v_mul_f32_e32 v1, 0x5f7ffffc, v1
	v_mul_f32_e32 v2, 0x2f800000, v1
	v_trunc_f32_e32 v2, v2
	v_fmamk_f32 v1, v2, 0xcf800000, v1
	v_cvt_u32_f32_e32 v2, v2
	v_cvt_u32_f32_e32 v1, v1
	v_readfirstlane_b32 s23, v2
	v_readfirstlane_b32 s20, v1
	s_mul_i32 s21, s3, s23
	s_mul_hi_u32 s25, s3, s20
	s_mul_i32 s24, s22, s20
	s_add_i32 s21, s25, s21
	s_add_i32 s21, s21, s24
	s_mul_i32 s26, s3, s20
	s_mul_i32 s25, s20, s21
	s_mul_hi_u32 s27, s20, s26
	s_mul_hi_u32 s24, s20, s21
	s_add_u32 s25, s27, s25
	s_addc_u32 s24, 0, s24
	s_mul_hi_u32 s28, s23, s26
	s_mul_i32 s26, s23, s26
	s_add_u32 s25, s25, s26
	s_mul_hi_u32 s27, s23, s21
	s_addc_u32 s24, s24, s28
	s_addc_u32 s25, s27, 0
	s_mul_i32 s21, s23, s21
	s_add_u32 s21, s24, s21
	s_addc_u32 s24, 0, s25
	s_add_u32 s25, s20, s21
	s_cselect_b64 s[20:21], -1, 0
	s_cmp_lg_u64 s[20:21], 0
	s_addc_u32 s23, s23, s24
	s_mul_i32 s20, s3, s23
	s_mul_hi_u32 s21, s3, s25
	s_add_i32 s20, s21, s20
	s_mul_i32 s22, s22, s25
	s_add_i32 s20, s20, s22
	s_mul_i32 s3, s3, s25
	s_mul_hi_u32 s22, s23, s3
	s_mul_i32 s24, s23, s3
	s_mul_i32 s27, s25, s20
	s_mul_hi_u32 s3, s25, s3
	s_mul_hi_u32 s26, s25, s20
	s_add_u32 s3, s3, s27
	s_addc_u32 s26, 0, s26
	s_add_u32 s3, s3, s24
	s_mul_hi_u32 s21, s23, s20
	s_addc_u32 s3, s26, s22
	s_addc_u32 s21, s21, 0
	s_mul_i32 s20, s23, s20
	s_add_u32 s3, s3, s20
	s_addc_u32 s22, 0, s21
	s_add_u32 s3, s25, s3
	s_cselect_b64 s[20:21], -1, 0
	s_cmp_lg_u64 s[20:21], 0
	s_addc_u32 s24, s23, s22
	s_ashr_i32 s20, s13, 31
	s_add_u32 s22, s12, s20
	s_mov_b32 s21, s20
	s_addc_u32 s23, s13, s20
	s_xor_b64 s[22:23], s[22:23], s[20:21]
	s_mul_i32 s26, s22, s24
	s_mul_hi_u32 s27, s22, s3
	s_mul_hi_u32 s25, s22, s24
	s_add_u32 s26, s27, s26
	s_addc_u32 s25, 0, s25
	s_mul_hi_u32 s28, s23, s3
	s_mul_i32 s3, s23, s3
	s_add_u32 s3, s26, s3
	s_mul_hi_u32 s27, s23, s24
	s_addc_u32 s3, s25, s28
	s_addc_u32 s25, s27, 0
	s_mul_i32 s24, s23, s24
	s_add_u32 s3, s3, s24
	s_addc_u32 s28, 0, s25
	s_mul_i32 s24, s16, s28
	s_mul_hi_u32 s25, s16, s3
	s_add_i32 s24, s25, s24
	s_mul_i32 s25, s17, s3
	s_add_i32 s29, s24, s25
	s_sub_i32 s26, s23, s29
	s_mul_i32 s24, s16, s3
	s_sub_u32 s22, s22, s24
	s_cselect_b64 s[24:25], -1, 0
	s_cmp_lg_u64 s[24:25], 0
	s_subb_u32 s30, s26, s17
	s_sub_u32 s31, s22, s16
	s_cselect_b64 s[26:27], -1, 0
	s_cmp_lg_u64 s[26:27], 0
	s_subb_u32 s26, s30, 0
	s_cmp_ge_u32 s26, s17
	s_cselect_b32 s27, -1, 0
	s_cmp_ge_u32 s31, s16
	s_cselect_b32 s30, -1, 0
	s_cmp_eq_u32 s26, s17
	s_cselect_b32 s26, s30, s27
	s_add_u32 s27, s3, 1
	s_addc_u32 s30, s28, 0
	s_add_u32 s31, s3, 2
	s_addc_u32 s33, s28, 0
	s_cmp_lg_u32 s26, 0
	s_cselect_b32 s26, s31, s27
	s_cselect_b32 s27, s33, s30
	s_cmp_lg_u64 s[24:25], 0
	s_subb_u32 s23, s23, s29
	s_cmp_ge_u32 s23, s17
	s_cselect_b32 s24, -1, 0
	s_cmp_ge_u32 s22, s16
	s_cselect_b32 s16, -1, 0
	s_cmp_eq_u32 s23, s17
	s_cselect_b32 s16, s16, s24
	s_cmp_lg_u32 s16, 0
	s_cselect_b32 s17, s27, s28
	s_cselect_b32 s16, s26, s3
	s_xor_b64 s[14:15], s[20:21], s[14:15]
	s_xor_b64 s[16:17], s[16:17], s[14:15]
	s_sub_u32 s16, s16, s14
	s_subb_u32 s17, s17, s15
	s_load_dwordx2 s[14:15], s[0:1], 0x10
	s_cbranch_execnz .LBB23_4
.LBB23_3:
	v_cvt_f32_u32_e32 v1, s10
	s_sub_i32 s3, 0, s10
	s_mov_b32 s17, 0
	v_rcp_iflag_f32_e32 v1, v1
	s_nop 0
	v_mul_f32_e32 v1, 0x4f7ffffe, v1
	v_cvt_u32_f32_e32 v1, v1
	s_nop 0
	v_readfirstlane_b32 s16, v1
	s_mul_i32 s3, s3, s16
	s_mul_hi_u32 s3, s16, s3
	s_add_i32 s16, s16, s3
	s_mul_hi_u32 s3, s12, s16
	s_mul_i32 s18, s3, s10
	s_sub_i32 s18, s12, s18
	s_add_i32 s16, s3, 1
	s_sub_i32 s19, s18, s10
	s_cmp_ge_u32 s18, s10
	s_cselect_b32 s3, s16, s3
	s_cselect_b32 s18, s19, s18
	s_add_i32 s16, s3, 1
	s_cmp_ge_u32 s18, s10
	s_cselect_b32 s16, s16, s3
.LBB23_4:
	s_mul_i32 s3, s16, s11
	s_mul_hi_u32 s11, s16, s10
	s_load_dwordx2 s[20:21], s[0:1], 0x8
	s_load_dwordx2 s[18:19], s[0:1], 0x40
	s_add_i32 s3, s11, s3
	s_mul_i32 s11, s17, s10
	s_add_i32 s11, s3, s11
	s_mul_i32 s3, s16, s10
	s_sub_u32 s3, s12, s3
	s_subb_u32 s28, s13, s11
	v_cmp_gt_i32_e32 vcc, s8, v0
	s_mul_hi_u32 s29, s16, s4
	s_mul_i32 s30, s17, s4
	s_mul_i32 s26, s16, s4
	s_mul_hi_u32 s27, s3, s5
	s_mul_i32 s28, s28, s5
	s_mul_i32 s17, s3, s5
	s_and_saveexec_b64 s[10:11], vcc
	s_cbranch_execz .LBB23_7
; %bb.5:
	s_ashr_i32 s22, s6, 31
	s_mul_hi_u32 s23, s6, s2
	s_mul_i32 s22, s22, s2
	s_add_i32 s23, s23, s22
	s_mul_i32 s22, s6, s2
	s_ashr_i32 s6, s4, 31
	s_mul_i32 s6, s16, s6
	s_load_dwordx2 s[12:13], s[0:1], 0x0
	s_load_dword s31, s[0:1], 0x54
	s_add_i32 s6, s29, s6
	s_add_i32 s24, s6, s30
	s_ashr_i32 s6, s5, 31
	s_mul_i32 s6, s3, s6
	s_add_i32 s6, s27, s6
	s_add_i32 s25, s6, s28
	s_lshl_b64 s[22:23], s[22:23], 2
	s_waitcnt lgkmcnt(0)
	s_add_u32 s12, s12, s22
	s_addc_u32 s13, s13, s23
	s_load_dword s6, s[18:19], 0x0
	s_add_u32 s22, s14, s26
	s_addc_u32 s23, s15, s24
	s_add_u32 s22, s22, s17
	s_addc_u32 s23, s23, s25
	s_and_b32 s31, s31, 0xffff
	s_mov_b64 s[24:25], 0
	s_mov_b32 s33, 0x7f800000
	s_mov_b32 s34, 0x43e00000
	v_mov_b32_e32 v1, 0xc3e00000
	v_mov_b32_e32 v2, v0
.LBB23_6:                               ; =>This Inner Loop Header: Depth=1
	v_ashrrev_i32_e32 v3, 31, v2
	v_lshl_add_u64 v[4:5], v[2:3], 2, s[12:13]
	global_load_dword v4, v[4:5], off
	v_mov_b32_e32 v7, 0
	s_waitcnt vmcnt(0) lgkmcnt(0)
	v_div_scale_f32 v5, s[36:37], s6, s6, v4
	v_rcp_f32_e32 v6, v5
	v_div_scale_f32 v8, vcc, v4, s6, v4
	v_fma_f32 v9, -v5, v6, 1.0
	v_fmac_f32_e32 v6, v9, v6
	v_mul_f32_e32 v9, v8, v6
	v_fma_f32 v10, -v5, v9, v8
	v_fmac_f32_e32 v9, v10, v6
	v_fma_f32 v5, -v5, v9, v8
	v_div_fmas_f32 v5, v5, v6, v9
	v_div_fixup_f32 v4, v5, s6, v4
	v_med3_f32 v5, v4, s34, v1
	v_cmp_nlg_f32_e64 vcc, |v4|, s33
	s_nop 1
	v_cndmask_b32_e32 v4, v5, v4, vcc
	v_cvt_pk_fp8_f32 v7, v4, v4
	v_lshl_add_u64 v[4:5], s[22:23], 0, v[2:3]
	v_add_u32_e32 v2, s31, v2
	v_cmp_le_i32_e32 vcc, s8, v2
	s_or_b64 s[24:25], vcc, s[24:25]
	global_store_byte v[4:5], v7, off
	s_andn2_b64 exec, exec, s[24:25]
	s_cbranch_execnz .LBB23_6
.LBB23_7:
	s_or_b64 exec, exec, s[10:11]
	v_cmp_gt_i32_e32 vcc, s9, v0
	s_and_saveexec_b64 s[10:11], vcc
	s_cbranch_execz .LBB23_10
; %bb.8:
	s_ashr_i32 s6, s7, 31
	s_mul_hi_u32 s10, s7, s2
	s_mul_i32 s6, s6, s2
	s_add_i32 s11, s10, s6
	s_mul_i32 s10, s7, s2
	s_ashr_i32 s2, s4, 31
	s_mul_i32 s2, s16, s2
	s_add_i32 s2, s29, s2
	s_add_i32 s4, s2, s30
	s_ashr_i32 s2, s5, 31
	s_mul_i32 s3, s3, s2
	s_add_i32 s2, s27, s3
	s_add_i32 s5, s2, s28
	s_ashr_i32 s7, s8, 31
	s_lshl_b64 s[2:3], s[10:11], 2
	s_waitcnt lgkmcnt(0)
	s_add_u32 s2, s20, s2
	s_addc_u32 s3, s21, s3
	s_add_u32 s10, s14, s26
	s_load_dword s11, s[0:1], 0x54
	s_load_dword s6, s[18:19], 0x0
	s_addc_u32 s4, s15, s4
	s_add_u32 s0, s10, s17
	s_addc_u32 s1, s4, s5
	s_add_u32 s0, s0, s8
	s_addc_u32 s1, s1, s7
	s_waitcnt lgkmcnt(0)
	s_and_b32 s7, s11, 0xffff
	s_mov_b64 s[4:5], 0
	s_mov_b32 s8, 0x7f800000
	s_mov_b32 s10, 0x43e00000
	v_mov_b32_e32 v2, 0xc3e00000
.LBB23_9:                               ; =>This Inner Loop Header: Depth=1
	v_ashrrev_i32_e32 v1, 31, v0
	v_lshl_add_u64 v[4:5], v[0:1], 2, s[2:3]
	global_load_dword v3, v[4:5], off
	v_mov_b32_e32 v6, 0
	s_waitcnt vmcnt(0)
	v_div_scale_f32 v4, s[12:13], s6, s6, v3
	v_rcp_f32_e32 v5, v4
	v_div_scale_f32 v7, vcc, v3, s6, v3
	v_fma_f32 v8, -v4, v5, 1.0
	v_fmac_f32_e32 v5, v8, v5
	v_mul_f32_e32 v8, v7, v5
	v_fma_f32 v9, -v4, v8, v7
	v_fmac_f32_e32 v8, v9, v5
	v_fma_f32 v4, -v4, v8, v7
	v_div_fmas_f32 v4, v4, v5, v8
	v_div_fixup_f32 v3, v4, s6, v3
	v_med3_f32 v4, v3, s10, v2
	v_cmp_nlg_f32_e64 vcc, |v3|, s8
	s_nop 1
	v_cndmask_b32_e32 v3, v4, v3, vcc
	v_cvt_pk_fp8_f32 v6, v3, v3
	v_lshl_add_u64 v[4:5], s[0:1], 0, v[0:1]
	v_add_u32_e32 v0, s7, v0
	v_cmp_le_i32_e32 vcc, s9, v0
	s_or_b64 s[4:5], vcc, s[4:5]
	global_store_byte v[4:5], v6, off
	s_andn2_b64 exec, exec, s[4:5]
	s_cbranch_execnz .LBB23_9
.LBB23_10:
	s_endpgm
.LBB23_11:
                                        ; implicit-def: $sgpr16_sgpr17
	s_load_dwordx2 s[14:15], s[0:1], 0x10
	s_branch .LBB23_3
	.section	.rodata,"a",@progbits
	.p2align	6, 0x0
	.amdhsa_kernel _ZN4vllm27concat_and_cache_mla_kernelIfhLNS_18Fp8KVCacheDataTypeE1EEEvPKT_S4_PT0_PKliiiiiiiPKf
		.amdhsa_group_segment_fixed_size 0
		.amdhsa_private_segment_fixed_size 0
		.amdhsa_kernarg_size 328
		.amdhsa_user_sgpr_count 2
		.amdhsa_user_sgpr_dispatch_ptr 0
		.amdhsa_user_sgpr_queue_ptr 0
		.amdhsa_user_sgpr_kernarg_segment_ptr 1
		.amdhsa_user_sgpr_dispatch_id 0
		.amdhsa_user_sgpr_kernarg_preload_length 0
		.amdhsa_user_sgpr_kernarg_preload_offset 0
		.amdhsa_user_sgpr_private_segment_size 0
		.amdhsa_uses_dynamic_stack 0
		.amdhsa_enable_private_segment 0
		.amdhsa_system_sgpr_workgroup_id_x 1
		.amdhsa_system_sgpr_workgroup_id_y 0
		.amdhsa_system_sgpr_workgroup_id_z 0
		.amdhsa_system_sgpr_workgroup_info 0
		.amdhsa_system_vgpr_workitem_id 0
		.amdhsa_next_free_vgpr 11
		.amdhsa_next_free_sgpr 38
		.amdhsa_accum_offset 12
		.amdhsa_reserve_vcc 1
		.amdhsa_float_round_mode_32 0
		.amdhsa_float_round_mode_16_64 0
		.amdhsa_float_denorm_mode_32 3
		.amdhsa_float_denorm_mode_16_64 3
		.amdhsa_dx10_clamp 1
		.amdhsa_ieee_mode 1
		.amdhsa_fp16_overflow 0
		.amdhsa_tg_split 0
		.amdhsa_exception_fp_ieee_invalid_op 0
		.amdhsa_exception_fp_denorm_src 0
		.amdhsa_exception_fp_ieee_div_zero 0
		.amdhsa_exception_fp_ieee_overflow 0
		.amdhsa_exception_fp_ieee_underflow 0
		.amdhsa_exception_fp_ieee_inexact 0
		.amdhsa_exception_int_div_zero 0
	.end_amdhsa_kernel
	.section	.text._ZN4vllm27concat_and_cache_mla_kernelIfhLNS_18Fp8KVCacheDataTypeE1EEEvPKT_S4_PT0_PKliiiiiiiPKf,"axG",@progbits,_ZN4vllm27concat_and_cache_mla_kernelIfhLNS_18Fp8KVCacheDataTypeE1EEEvPKT_S4_PT0_PKliiiiiiiPKf,comdat
.Lfunc_end23:
	.size	_ZN4vllm27concat_and_cache_mla_kernelIfhLNS_18Fp8KVCacheDataTypeE1EEEvPKT_S4_PT0_PKliiiiiiiPKf, .Lfunc_end23-_ZN4vllm27concat_and_cache_mla_kernelIfhLNS_18Fp8KVCacheDataTypeE1EEEvPKT_S4_PT0_PKliiiiiiiPKf
                                        ; -- End function
	.set _ZN4vllm27concat_and_cache_mla_kernelIfhLNS_18Fp8KVCacheDataTypeE1EEEvPKT_S4_PT0_PKliiiiiiiPKf.num_vgpr, 11
	.set _ZN4vllm27concat_and_cache_mla_kernelIfhLNS_18Fp8KVCacheDataTypeE1EEEvPKT_S4_PT0_PKliiiiiiiPKf.num_agpr, 0
	.set _ZN4vllm27concat_and_cache_mla_kernelIfhLNS_18Fp8KVCacheDataTypeE1EEEvPKT_S4_PT0_PKliiiiiiiPKf.numbered_sgpr, 38
	.set _ZN4vllm27concat_and_cache_mla_kernelIfhLNS_18Fp8KVCacheDataTypeE1EEEvPKT_S4_PT0_PKliiiiiiiPKf.num_named_barrier, 0
	.set _ZN4vllm27concat_and_cache_mla_kernelIfhLNS_18Fp8KVCacheDataTypeE1EEEvPKT_S4_PT0_PKliiiiiiiPKf.private_seg_size, 0
	.set _ZN4vllm27concat_and_cache_mla_kernelIfhLNS_18Fp8KVCacheDataTypeE1EEEvPKT_S4_PT0_PKliiiiiiiPKf.uses_vcc, 1
	.set _ZN4vllm27concat_and_cache_mla_kernelIfhLNS_18Fp8KVCacheDataTypeE1EEEvPKT_S4_PT0_PKliiiiiiiPKf.uses_flat_scratch, 0
	.set _ZN4vllm27concat_and_cache_mla_kernelIfhLNS_18Fp8KVCacheDataTypeE1EEEvPKT_S4_PT0_PKliiiiiiiPKf.has_dyn_sized_stack, 0
	.set _ZN4vllm27concat_and_cache_mla_kernelIfhLNS_18Fp8KVCacheDataTypeE1EEEvPKT_S4_PT0_PKliiiiiiiPKf.has_recursion, 0
	.set _ZN4vllm27concat_and_cache_mla_kernelIfhLNS_18Fp8KVCacheDataTypeE1EEEvPKT_S4_PT0_PKliiiiiiiPKf.has_indirect_call, 0
	.section	.AMDGPU.csdata,"",@progbits
; Kernel info:
; codeLenInByte = 1484
; TotalNumSgprs: 44
; NumVgprs: 11
; NumAgprs: 0
; TotalNumVgprs: 11
; ScratchSize: 0
; MemoryBound: 0
; FloatMode: 240
; IeeeMode: 1
; LDSByteSize: 0 bytes/workgroup (compile time only)
; SGPRBlocks: 5
; VGPRBlocks: 1
; NumSGPRsForWavesPerEU: 44
; NumVGPRsForWavesPerEU: 11
; AccumOffset: 12
; Occupancy: 8
; WaveLimiterHint : 1
; COMPUTE_PGM_RSRC2:SCRATCH_EN: 0
; COMPUTE_PGM_RSRC2:USER_SGPR: 2
; COMPUTE_PGM_RSRC2:TRAP_HANDLER: 0
; COMPUTE_PGM_RSRC2:TGID_X_EN: 1
; COMPUTE_PGM_RSRC2:TGID_Y_EN: 0
; COMPUTE_PGM_RSRC2:TGID_Z_EN: 0
; COMPUTE_PGM_RSRC2:TIDIG_COMP_CNT: 0
; COMPUTE_PGM_RSRC3_GFX90A:ACCUM_OFFSET: 2
; COMPUTE_PGM_RSRC3_GFX90A:TG_SPLIT: 0
	.section	.text._ZN4vllm27concat_and_cache_mla_kernelIthLNS_18Fp8KVCacheDataTypeE1EEEvPKT_S4_PT0_PKliiiiiiiPKf,"axG",@progbits,_ZN4vllm27concat_and_cache_mla_kernelIthLNS_18Fp8KVCacheDataTypeE1EEEvPKT_S4_PT0_PKliiiiiiiPKf,comdat
	.protected	_ZN4vllm27concat_and_cache_mla_kernelIthLNS_18Fp8KVCacheDataTypeE1EEEvPKT_S4_PT0_PKliiiiiiiPKf ; -- Begin function _ZN4vllm27concat_and_cache_mla_kernelIthLNS_18Fp8KVCacheDataTypeE1EEEvPKT_S4_PT0_PKliiiiiiiPKf
	.globl	_ZN4vllm27concat_and_cache_mla_kernelIthLNS_18Fp8KVCacheDataTypeE1EEEvPKT_S4_PT0_PKliiiiiiiPKf
	.p2align	8
	.type	_ZN4vllm27concat_and_cache_mla_kernelIthLNS_18Fp8KVCacheDataTypeE1EEEvPKT_S4_PT0_PKliiiiiiiPKf,@function
_ZN4vllm27concat_and_cache_mla_kernelIthLNS_18Fp8KVCacheDataTypeE1EEEvPKT_S4_PT0_PKliiiiiiiPKf: ; @_ZN4vllm27concat_and_cache_mla_kernelIthLNS_18Fp8KVCacheDataTypeE1EEEvPKT_S4_PT0_PKliiiiiiiPKf
; %bb.0:
	s_load_dwordx2 s[4:5], s[0:1], 0x18
	s_mov_b32 s3, 0
	s_lshl_b64 s[6:7], s[2:3], 3
	s_waitcnt lgkmcnt(0)
	s_add_u32 s4, s4, s6
	s_addc_u32 s5, s5, s7
	s_load_dwordx2 s[12:13], s[4:5], 0x0
	s_waitcnt lgkmcnt(0)
	v_cmp_lt_i64_e64 s[4:5], s[12:13], 0
	s_and_b64 vcc, exec, s[4:5]
	s_cbranch_vccnz .LBB24_10
; %bb.1:
	s_load_dwordx8 s[4:11], s[0:1], 0x20
	s_waitcnt lgkmcnt(0)
	s_ashr_i32 s11, s10, 31
	s_or_b64 s[14:15], s[12:13], s[10:11]
	s_mov_b32 s14, s3
	s_cmp_lg_u64 s[14:15], 0
	s_cbranch_scc0 .LBB24_11
; %bb.2:
	s_ashr_i32 s14, s11, 31
	s_add_u32 s16, s10, s14
	s_mov_b32 s15, s14
	s_addc_u32 s17, s11, s14
	s_xor_b64 s[16:17], s[16:17], s[14:15]
	v_cvt_f32_u32_e32 v1, s16
	v_cvt_f32_u32_e32 v2, s17
	s_sub_u32 s3, 0, s16
	s_subb_u32 s22, 0, s17
	v_fmamk_f32 v1, v2, 0x4f800000, v1
	v_rcp_f32_e32 v1, v1
	s_nop 0
	v_mul_f32_e32 v1, 0x5f7ffffc, v1
	v_mul_f32_e32 v2, 0x2f800000, v1
	v_trunc_f32_e32 v2, v2
	v_fmamk_f32 v1, v2, 0xcf800000, v1
	v_cvt_u32_f32_e32 v2, v2
	v_cvt_u32_f32_e32 v1, v1
	v_readfirstlane_b32 s23, v2
	v_readfirstlane_b32 s20, v1
	s_mul_i32 s21, s3, s23
	s_mul_hi_u32 s25, s3, s20
	s_mul_i32 s24, s22, s20
	s_add_i32 s21, s25, s21
	s_add_i32 s21, s21, s24
	s_mul_i32 s26, s3, s20
	s_mul_i32 s25, s20, s21
	s_mul_hi_u32 s27, s20, s26
	s_mul_hi_u32 s24, s20, s21
	s_add_u32 s25, s27, s25
	s_addc_u32 s24, 0, s24
	s_mul_hi_u32 s28, s23, s26
	s_mul_i32 s26, s23, s26
	s_add_u32 s25, s25, s26
	s_mul_hi_u32 s27, s23, s21
	s_addc_u32 s24, s24, s28
	s_addc_u32 s25, s27, 0
	s_mul_i32 s21, s23, s21
	s_add_u32 s21, s24, s21
	s_addc_u32 s24, 0, s25
	s_add_u32 s25, s20, s21
	s_cselect_b64 s[20:21], -1, 0
	s_cmp_lg_u64 s[20:21], 0
	s_addc_u32 s23, s23, s24
	s_mul_i32 s20, s3, s23
	s_mul_hi_u32 s21, s3, s25
	s_add_i32 s20, s21, s20
	s_mul_i32 s22, s22, s25
	s_add_i32 s20, s20, s22
	s_mul_i32 s3, s3, s25
	s_mul_hi_u32 s22, s23, s3
	s_mul_i32 s24, s23, s3
	s_mul_i32 s27, s25, s20
	s_mul_hi_u32 s3, s25, s3
	s_mul_hi_u32 s26, s25, s20
	s_add_u32 s3, s3, s27
	s_addc_u32 s26, 0, s26
	s_add_u32 s3, s3, s24
	s_mul_hi_u32 s21, s23, s20
	s_addc_u32 s3, s26, s22
	s_addc_u32 s21, s21, 0
	s_mul_i32 s20, s23, s20
	s_add_u32 s3, s3, s20
	s_addc_u32 s22, 0, s21
	s_add_u32 s3, s25, s3
	s_cselect_b64 s[20:21], -1, 0
	s_cmp_lg_u64 s[20:21], 0
	s_addc_u32 s24, s23, s22
	s_ashr_i32 s20, s13, 31
	s_add_u32 s22, s12, s20
	s_mov_b32 s21, s20
	s_addc_u32 s23, s13, s20
	s_xor_b64 s[22:23], s[22:23], s[20:21]
	s_mul_i32 s26, s22, s24
	s_mul_hi_u32 s27, s22, s3
	s_mul_hi_u32 s25, s22, s24
	s_add_u32 s26, s27, s26
	s_addc_u32 s25, 0, s25
	s_mul_hi_u32 s28, s23, s3
	s_mul_i32 s3, s23, s3
	s_add_u32 s3, s26, s3
	s_mul_hi_u32 s27, s23, s24
	s_addc_u32 s3, s25, s28
	s_addc_u32 s25, s27, 0
	s_mul_i32 s24, s23, s24
	s_add_u32 s3, s3, s24
	s_addc_u32 s28, 0, s25
	s_mul_i32 s24, s16, s28
	s_mul_hi_u32 s25, s16, s3
	s_add_i32 s24, s25, s24
	s_mul_i32 s25, s17, s3
	s_add_i32 s29, s24, s25
	s_sub_i32 s26, s23, s29
	s_mul_i32 s24, s16, s3
	s_sub_u32 s22, s22, s24
	s_cselect_b64 s[24:25], -1, 0
	s_cmp_lg_u64 s[24:25], 0
	s_subb_u32 s30, s26, s17
	s_sub_u32 s31, s22, s16
	s_cselect_b64 s[26:27], -1, 0
	s_cmp_lg_u64 s[26:27], 0
	s_subb_u32 s26, s30, 0
	s_cmp_ge_u32 s26, s17
	s_cselect_b32 s27, -1, 0
	s_cmp_ge_u32 s31, s16
	s_cselect_b32 s30, -1, 0
	s_cmp_eq_u32 s26, s17
	s_cselect_b32 s26, s30, s27
	s_add_u32 s27, s3, 1
	s_addc_u32 s30, s28, 0
	s_add_u32 s31, s3, 2
	s_addc_u32 s33, s28, 0
	s_cmp_lg_u32 s26, 0
	s_cselect_b32 s26, s31, s27
	s_cselect_b32 s27, s33, s30
	s_cmp_lg_u64 s[24:25], 0
	s_subb_u32 s23, s23, s29
	s_cmp_ge_u32 s23, s17
	s_cselect_b32 s24, -1, 0
	s_cmp_ge_u32 s22, s16
	s_cselect_b32 s16, -1, 0
	s_cmp_eq_u32 s23, s17
	s_cselect_b32 s16, s16, s24
	s_cmp_lg_u32 s16, 0
	s_cselect_b32 s17, s27, s28
	s_cselect_b32 s16, s26, s3
	s_xor_b64 s[14:15], s[20:21], s[14:15]
	s_xor_b64 s[16:17], s[16:17], s[14:15]
	s_sub_u32 s16, s16, s14
	s_subb_u32 s17, s17, s15
	s_load_dwordx2 s[14:15], s[0:1], 0x10
	s_cbranch_execnz .LBB24_4
.LBB24_3:
	v_cvt_f32_u32_e32 v1, s10
	s_sub_i32 s3, 0, s10
	s_mov_b32 s17, 0
	v_rcp_iflag_f32_e32 v1, v1
	s_nop 0
	v_mul_f32_e32 v1, 0x4f7ffffe, v1
	v_cvt_u32_f32_e32 v1, v1
	s_nop 0
	v_readfirstlane_b32 s16, v1
	s_mul_i32 s3, s3, s16
	s_mul_hi_u32 s3, s16, s3
	s_add_i32 s16, s16, s3
	s_mul_hi_u32 s3, s12, s16
	s_mul_i32 s18, s3, s10
	s_sub_i32 s18, s12, s18
	s_add_i32 s16, s3, 1
	s_sub_i32 s19, s18, s10
	s_cmp_ge_u32 s18, s10
	s_cselect_b32 s3, s16, s3
	s_cselect_b32 s18, s19, s18
	s_add_i32 s16, s3, 1
	s_cmp_ge_u32 s18, s10
	s_cselect_b32 s16, s16, s3
.LBB24_4:
	s_mul_i32 s3, s16, s11
	s_mul_hi_u32 s11, s16, s10
	s_load_dwordx2 s[20:21], s[0:1], 0x8
	s_load_dwordx2 s[18:19], s[0:1], 0x40
	s_add_i32 s3, s11, s3
	s_mul_i32 s11, s17, s10
	s_add_i32 s11, s3, s11
	s_mul_i32 s3, s16, s10
	s_sub_u32 s3, s12, s3
	s_subb_u32 s28, s13, s11
	v_cmp_gt_i32_e32 vcc, s8, v0
	s_mul_hi_u32 s29, s16, s4
	s_mul_i32 s30, s17, s4
	s_mul_i32 s26, s16, s4
	s_mul_hi_u32 s27, s3, s5
	s_mul_i32 s28, s28, s5
	s_mul_i32 s17, s3, s5
	s_and_saveexec_b64 s[10:11], vcc
	s_cbranch_execz .LBB24_7
; %bb.5:
	s_ashr_i32 s22, s6, 31
	s_mul_hi_u32 s23, s6, s2
	s_mul_i32 s22, s22, s2
	s_add_i32 s23, s23, s22
	s_mul_i32 s22, s6, s2
	s_ashr_i32 s6, s4, 31
	s_mul_i32 s6, s16, s6
	s_load_dwordx2 s[12:13], s[0:1], 0x0
	s_load_dword s31, s[0:1], 0x54
	s_add_i32 s6, s29, s6
	s_add_i32 s24, s6, s30
	s_ashr_i32 s6, s5, 31
	s_mul_i32 s6, s3, s6
	s_add_i32 s6, s27, s6
	s_add_i32 s25, s6, s28
	s_lshl_b64 s[22:23], s[22:23], 1
	s_waitcnt lgkmcnt(0)
	s_add_u32 s12, s12, s22
	s_addc_u32 s13, s13, s23
	s_load_dword s6, s[18:19], 0x0
	s_add_u32 s22, s14, s26
	s_addc_u32 s23, s15, s24
	s_add_u32 s22, s22, s17
	s_addc_u32 s23, s23, s25
	s_and_b32 s31, s31, 0xffff
	s_mov_b64 s[24:25], 0
	s_mov_b32 s33, 0x7f800000
	s_mov_b32 s34, 0x43e00000
	v_mov_b32_e32 v1, 0xc3e00000
	v_mov_b32_e32 v2, v0
.LBB24_6:                               ; =>This Inner Loop Header: Depth=1
	v_ashrrev_i32_e32 v3, 31, v2
	v_lshl_add_u64 v[4:5], v[2:3], 1, s[12:13]
	global_load_ushort v4, v[4:5], off
	s_waitcnt vmcnt(0)
	v_cvt_f32_f16_e32 v4, v4
	s_waitcnt lgkmcnt(0)
	v_div_scale_f32 v5, s[36:37], s6, s6, v4
	v_rcp_f32_e32 v6, v5
	v_div_scale_f32 v7, vcc, v4, s6, v4
	v_fma_f32 v8, -v5, v6, 1.0
	v_fmac_f32_e32 v6, v8, v6
	v_mul_f32_e32 v8, v7, v6
	v_fma_f32 v9, -v5, v8, v7
	v_fmac_f32_e32 v8, v9, v6
	v_fma_f32 v5, -v5, v8, v7
	v_div_fmas_f32 v5, v5, v6, v8
	v_div_fixup_f32 v4, v5, s6, v4
	v_cvt_f16_f32_e32 v4, v4
	v_mov_b32_e32 v6, 0
	v_cvt_f32_f16_e32 v4, v4
	v_med3_f32 v5, v4, s34, v1
	v_cmp_nlg_f32_e64 vcc, |v4|, s33
	s_nop 1
	v_cndmask_b32_e32 v4, v5, v4, vcc
	v_cvt_pk_fp8_f32 v6, v4, v4
	v_lshl_add_u64 v[4:5], s[22:23], 0, v[2:3]
	v_add_u32_e32 v2, s31, v2
	v_cmp_le_i32_e32 vcc, s8, v2
	s_or_b64 s[24:25], vcc, s[24:25]
	global_store_byte v[4:5], v6, off
	s_andn2_b64 exec, exec, s[24:25]
	s_cbranch_execnz .LBB24_6
.LBB24_7:
	s_or_b64 exec, exec, s[10:11]
	v_cmp_gt_i32_e32 vcc, s9, v0
	s_and_saveexec_b64 s[10:11], vcc
	s_cbranch_execz .LBB24_10
; %bb.8:
	s_ashr_i32 s6, s7, 31
	s_mul_hi_u32 s10, s7, s2
	s_mul_i32 s6, s6, s2
	s_add_i32 s11, s10, s6
	s_mul_i32 s10, s7, s2
	s_ashr_i32 s2, s4, 31
	s_mul_i32 s2, s16, s2
	s_add_i32 s2, s29, s2
	s_add_i32 s4, s2, s30
	s_ashr_i32 s2, s5, 31
	s_mul_i32 s3, s3, s2
	s_add_i32 s2, s27, s3
	s_add_i32 s5, s2, s28
	s_ashr_i32 s7, s8, 31
	s_lshl_b64 s[2:3], s[10:11], 1
	s_waitcnt lgkmcnt(0)
	s_add_u32 s2, s20, s2
	s_addc_u32 s3, s21, s3
	s_add_u32 s10, s14, s26
	s_load_dword s11, s[0:1], 0x54
	s_load_dword s6, s[18:19], 0x0
	s_addc_u32 s4, s15, s4
	s_add_u32 s0, s10, s17
	s_addc_u32 s1, s4, s5
	s_add_u32 s0, s0, s8
	s_addc_u32 s1, s1, s7
	s_waitcnt lgkmcnt(0)
	s_and_b32 s7, s11, 0xffff
	s_mov_b64 s[4:5], 0
	s_mov_b32 s8, 0x7f800000
	s_mov_b32 s10, 0x43e00000
	v_mov_b32_e32 v2, 0xc3e00000
.LBB24_9:                               ; =>This Inner Loop Header: Depth=1
	v_ashrrev_i32_e32 v1, 31, v0
	v_lshl_add_u64 v[4:5], v[0:1], 1, s[2:3]
	global_load_ushort v3, v[4:5], off
	s_waitcnt vmcnt(0)
	v_cvt_f32_f16_e32 v3, v3
	v_div_scale_f32 v4, s[12:13], s6, s6, v3
	v_rcp_f32_e32 v5, v4
	v_div_scale_f32 v6, vcc, v3, s6, v3
	v_fma_f32 v7, -v4, v5, 1.0
	v_fmac_f32_e32 v5, v7, v5
	v_mul_f32_e32 v7, v6, v5
	v_fma_f32 v8, -v4, v7, v6
	v_fmac_f32_e32 v7, v8, v5
	v_fma_f32 v4, -v4, v7, v6
	v_div_fmas_f32 v4, v4, v5, v7
	v_div_fixup_f32 v3, v4, s6, v3
	v_cvt_f16_f32_e32 v3, v3
	v_mov_b32_e32 v6, 0
	v_cvt_f32_f16_e32 v3, v3
	v_med3_f32 v4, v3, s10, v2
	v_cmp_nlg_f32_e64 vcc, |v3|, s8
	s_nop 1
	v_cndmask_b32_e32 v3, v4, v3, vcc
	v_cvt_pk_fp8_f32 v6, v3, v3
	v_lshl_add_u64 v[4:5], s[0:1], 0, v[0:1]
	v_add_u32_e32 v0, s7, v0
	v_cmp_le_i32_e32 vcc, s9, v0
	s_or_b64 s[4:5], vcc, s[4:5]
	global_store_byte v[4:5], v6, off
	s_andn2_b64 exec, exec, s[4:5]
	s_cbranch_execnz .LBB24_9
.LBB24_10:
	s_endpgm
.LBB24_11:
                                        ; implicit-def: $sgpr16_sgpr17
	s_load_dwordx2 s[14:15], s[0:1], 0x10
	s_branch .LBB24_3
	.section	.rodata,"a",@progbits
	.p2align	6, 0x0
	.amdhsa_kernel _ZN4vllm27concat_and_cache_mla_kernelIthLNS_18Fp8KVCacheDataTypeE1EEEvPKT_S4_PT0_PKliiiiiiiPKf
		.amdhsa_group_segment_fixed_size 0
		.amdhsa_private_segment_fixed_size 0
		.amdhsa_kernarg_size 328
		.amdhsa_user_sgpr_count 2
		.amdhsa_user_sgpr_dispatch_ptr 0
		.amdhsa_user_sgpr_queue_ptr 0
		.amdhsa_user_sgpr_kernarg_segment_ptr 1
		.amdhsa_user_sgpr_dispatch_id 0
		.amdhsa_user_sgpr_kernarg_preload_length 0
		.amdhsa_user_sgpr_kernarg_preload_offset 0
		.amdhsa_user_sgpr_private_segment_size 0
		.amdhsa_uses_dynamic_stack 0
		.amdhsa_enable_private_segment 0
		.amdhsa_system_sgpr_workgroup_id_x 1
		.amdhsa_system_sgpr_workgroup_id_y 0
		.amdhsa_system_sgpr_workgroup_id_z 0
		.amdhsa_system_sgpr_workgroup_info 0
		.amdhsa_system_vgpr_workitem_id 0
		.amdhsa_next_free_vgpr 10
		.amdhsa_next_free_sgpr 38
		.amdhsa_accum_offset 12
		.amdhsa_reserve_vcc 1
		.amdhsa_float_round_mode_32 0
		.amdhsa_float_round_mode_16_64 0
		.amdhsa_float_denorm_mode_32 3
		.amdhsa_float_denorm_mode_16_64 3
		.amdhsa_dx10_clamp 1
		.amdhsa_ieee_mode 1
		.amdhsa_fp16_overflow 0
		.amdhsa_tg_split 0
		.amdhsa_exception_fp_ieee_invalid_op 0
		.amdhsa_exception_fp_denorm_src 0
		.amdhsa_exception_fp_ieee_div_zero 0
		.amdhsa_exception_fp_ieee_overflow 0
		.amdhsa_exception_fp_ieee_underflow 0
		.amdhsa_exception_fp_ieee_inexact 0
		.amdhsa_exception_int_div_zero 0
	.end_amdhsa_kernel
	.section	.text._ZN4vllm27concat_and_cache_mla_kernelIthLNS_18Fp8KVCacheDataTypeE1EEEvPKT_S4_PT0_PKliiiiiiiPKf,"axG",@progbits,_ZN4vllm27concat_and_cache_mla_kernelIthLNS_18Fp8KVCacheDataTypeE1EEEvPKT_S4_PT0_PKliiiiiiiPKf,comdat
.Lfunc_end24:
	.size	_ZN4vllm27concat_and_cache_mla_kernelIthLNS_18Fp8KVCacheDataTypeE1EEEvPKT_S4_PT0_PKliiiiiiiPKf, .Lfunc_end24-_ZN4vllm27concat_and_cache_mla_kernelIthLNS_18Fp8KVCacheDataTypeE1EEEvPKT_S4_PT0_PKliiiiiiiPKf
                                        ; -- End function
	.set _ZN4vllm27concat_and_cache_mla_kernelIthLNS_18Fp8KVCacheDataTypeE1EEEvPKT_S4_PT0_PKliiiiiiiPKf.num_vgpr, 10
	.set _ZN4vllm27concat_and_cache_mla_kernelIthLNS_18Fp8KVCacheDataTypeE1EEEvPKT_S4_PT0_PKliiiiiiiPKf.num_agpr, 0
	.set _ZN4vllm27concat_and_cache_mla_kernelIthLNS_18Fp8KVCacheDataTypeE1EEEvPKT_S4_PT0_PKliiiiiiiPKf.numbered_sgpr, 38
	.set _ZN4vllm27concat_and_cache_mla_kernelIthLNS_18Fp8KVCacheDataTypeE1EEEvPKT_S4_PT0_PKliiiiiiiPKf.num_named_barrier, 0
	.set _ZN4vllm27concat_and_cache_mla_kernelIthLNS_18Fp8KVCacheDataTypeE1EEEvPKT_S4_PT0_PKliiiiiiiPKf.private_seg_size, 0
	.set _ZN4vllm27concat_and_cache_mla_kernelIthLNS_18Fp8KVCacheDataTypeE1EEEvPKT_S4_PT0_PKliiiiiiiPKf.uses_vcc, 1
	.set _ZN4vllm27concat_and_cache_mla_kernelIthLNS_18Fp8KVCacheDataTypeE1EEEvPKT_S4_PT0_PKliiiiiiiPKf.uses_flat_scratch, 0
	.set _ZN4vllm27concat_and_cache_mla_kernelIthLNS_18Fp8KVCacheDataTypeE1EEEvPKT_S4_PT0_PKliiiiiiiPKf.has_dyn_sized_stack, 0
	.set _ZN4vllm27concat_and_cache_mla_kernelIthLNS_18Fp8KVCacheDataTypeE1EEEvPKT_S4_PT0_PKliiiiiiiPKf.has_recursion, 0
	.set _ZN4vllm27concat_and_cache_mla_kernelIthLNS_18Fp8KVCacheDataTypeE1EEEvPKT_S4_PT0_PKliiiiiiiPKf.has_indirect_call, 0
	.section	.AMDGPU.csdata,"",@progbits
; Kernel info:
; codeLenInByte = 1512
; TotalNumSgprs: 44
; NumVgprs: 10
; NumAgprs: 0
; TotalNumVgprs: 10
; ScratchSize: 0
; MemoryBound: 0
; FloatMode: 240
; IeeeMode: 1
; LDSByteSize: 0 bytes/workgroup (compile time only)
; SGPRBlocks: 5
; VGPRBlocks: 1
; NumSGPRsForWavesPerEU: 44
; NumVGPRsForWavesPerEU: 10
; AccumOffset: 12
; Occupancy: 8
; WaveLimiterHint : 1
; COMPUTE_PGM_RSRC2:SCRATCH_EN: 0
; COMPUTE_PGM_RSRC2:USER_SGPR: 2
; COMPUTE_PGM_RSRC2:TRAP_HANDLER: 0
; COMPUTE_PGM_RSRC2:TGID_X_EN: 1
; COMPUTE_PGM_RSRC2:TGID_Y_EN: 0
; COMPUTE_PGM_RSRC2:TGID_Z_EN: 0
; COMPUTE_PGM_RSRC2:TIDIG_COMP_CNT: 0
; COMPUTE_PGM_RSRC3_GFX90A:ACCUM_OFFSET: 2
; COMPUTE_PGM_RSRC3_GFX90A:TG_SPLIT: 0
	.section	.text._ZN4vllm27concat_and_cache_mla_kernelI14__hip_bfloat16hLNS_18Fp8KVCacheDataTypeE1EEEvPKT_S5_PT0_PKliiiiiiiPKf,"axG",@progbits,_ZN4vllm27concat_and_cache_mla_kernelI14__hip_bfloat16hLNS_18Fp8KVCacheDataTypeE1EEEvPKT_S5_PT0_PKliiiiiiiPKf,comdat
	.protected	_ZN4vllm27concat_and_cache_mla_kernelI14__hip_bfloat16hLNS_18Fp8KVCacheDataTypeE1EEEvPKT_S5_PT0_PKliiiiiiiPKf ; -- Begin function _ZN4vllm27concat_and_cache_mla_kernelI14__hip_bfloat16hLNS_18Fp8KVCacheDataTypeE1EEEvPKT_S5_PT0_PKliiiiiiiPKf
	.globl	_ZN4vllm27concat_and_cache_mla_kernelI14__hip_bfloat16hLNS_18Fp8KVCacheDataTypeE1EEEvPKT_S5_PT0_PKliiiiiiiPKf
	.p2align	8
	.type	_ZN4vllm27concat_and_cache_mla_kernelI14__hip_bfloat16hLNS_18Fp8KVCacheDataTypeE1EEEvPKT_S5_PT0_PKliiiiiiiPKf,@function
_ZN4vllm27concat_and_cache_mla_kernelI14__hip_bfloat16hLNS_18Fp8KVCacheDataTypeE1EEEvPKT_S5_PT0_PKliiiiiiiPKf: ; @_ZN4vllm27concat_and_cache_mla_kernelI14__hip_bfloat16hLNS_18Fp8KVCacheDataTypeE1EEEvPKT_S5_PT0_PKliiiiiiiPKf
; %bb.0:
	s_load_dwordx2 s[4:5], s[0:1], 0x18
	s_mov_b32 s3, 0
	s_lshl_b64 s[6:7], s[2:3], 3
	s_waitcnt lgkmcnt(0)
	s_add_u32 s4, s4, s6
	s_addc_u32 s5, s5, s7
	s_load_dwordx2 s[12:13], s[4:5], 0x0
	s_waitcnt lgkmcnt(0)
	v_cmp_lt_i64_e64 s[4:5], s[12:13], 0
	s_and_b64 vcc, exec, s[4:5]
	s_cbranch_vccnz .LBB25_10
; %bb.1:
	s_load_dwordx8 s[4:11], s[0:1], 0x20
	s_waitcnt lgkmcnt(0)
	s_ashr_i32 s11, s10, 31
	s_or_b64 s[14:15], s[12:13], s[10:11]
	s_mov_b32 s14, s3
	s_cmp_lg_u64 s[14:15], 0
	s_cbranch_scc0 .LBB25_11
; %bb.2:
	s_ashr_i32 s14, s11, 31
	s_add_u32 s16, s10, s14
	s_mov_b32 s15, s14
	s_addc_u32 s17, s11, s14
	s_xor_b64 s[16:17], s[16:17], s[14:15]
	v_cvt_f32_u32_e32 v1, s16
	v_cvt_f32_u32_e32 v2, s17
	s_sub_u32 s3, 0, s16
	s_subb_u32 s22, 0, s17
	v_fmamk_f32 v1, v2, 0x4f800000, v1
	v_rcp_f32_e32 v1, v1
	s_nop 0
	v_mul_f32_e32 v1, 0x5f7ffffc, v1
	v_mul_f32_e32 v2, 0x2f800000, v1
	v_trunc_f32_e32 v2, v2
	v_fmamk_f32 v1, v2, 0xcf800000, v1
	v_cvt_u32_f32_e32 v2, v2
	v_cvt_u32_f32_e32 v1, v1
	v_readfirstlane_b32 s23, v2
	v_readfirstlane_b32 s20, v1
	s_mul_i32 s21, s3, s23
	s_mul_hi_u32 s25, s3, s20
	s_mul_i32 s24, s22, s20
	s_add_i32 s21, s25, s21
	s_add_i32 s21, s21, s24
	s_mul_i32 s26, s3, s20
	s_mul_i32 s25, s20, s21
	s_mul_hi_u32 s27, s20, s26
	s_mul_hi_u32 s24, s20, s21
	s_add_u32 s25, s27, s25
	s_addc_u32 s24, 0, s24
	s_mul_hi_u32 s28, s23, s26
	s_mul_i32 s26, s23, s26
	s_add_u32 s25, s25, s26
	s_mul_hi_u32 s27, s23, s21
	s_addc_u32 s24, s24, s28
	s_addc_u32 s25, s27, 0
	s_mul_i32 s21, s23, s21
	s_add_u32 s21, s24, s21
	s_addc_u32 s24, 0, s25
	s_add_u32 s25, s20, s21
	s_cselect_b64 s[20:21], -1, 0
	s_cmp_lg_u64 s[20:21], 0
	s_addc_u32 s23, s23, s24
	s_mul_i32 s20, s3, s23
	s_mul_hi_u32 s21, s3, s25
	s_add_i32 s20, s21, s20
	s_mul_i32 s22, s22, s25
	s_add_i32 s20, s20, s22
	s_mul_i32 s3, s3, s25
	s_mul_hi_u32 s22, s23, s3
	s_mul_i32 s24, s23, s3
	s_mul_i32 s27, s25, s20
	s_mul_hi_u32 s3, s25, s3
	s_mul_hi_u32 s26, s25, s20
	s_add_u32 s3, s3, s27
	s_addc_u32 s26, 0, s26
	s_add_u32 s3, s3, s24
	s_mul_hi_u32 s21, s23, s20
	s_addc_u32 s3, s26, s22
	s_addc_u32 s21, s21, 0
	s_mul_i32 s20, s23, s20
	s_add_u32 s3, s3, s20
	s_addc_u32 s22, 0, s21
	s_add_u32 s3, s25, s3
	s_cselect_b64 s[20:21], -1, 0
	s_cmp_lg_u64 s[20:21], 0
	s_addc_u32 s24, s23, s22
	s_ashr_i32 s20, s13, 31
	s_add_u32 s22, s12, s20
	s_mov_b32 s21, s20
	s_addc_u32 s23, s13, s20
	s_xor_b64 s[22:23], s[22:23], s[20:21]
	s_mul_i32 s26, s22, s24
	s_mul_hi_u32 s27, s22, s3
	s_mul_hi_u32 s25, s22, s24
	s_add_u32 s26, s27, s26
	s_addc_u32 s25, 0, s25
	s_mul_hi_u32 s28, s23, s3
	s_mul_i32 s3, s23, s3
	s_add_u32 s3, s26, s3
	s_mul_hi_u32 s27, s23, s24
	s_addc_u32 s3, s25, s28
	s_addc_u32 s25, s27, 0
	s_mul_i32 s24, s23, s24
	s_add_u32 s3, s3, s24
	s_addc_u32 s28, 0, s25
	s_mul_i32 s24, s16, s28
	s_mul_hi_u32 s25, s16, s3
	s_add_i32 s24, s25, s24
	s_mul_i32 s25, s17, s3
	s_add_i32 s29, s24, s25
	s_sub_i32 s26, s23, s29
	s_mul_i32 s24, s16, s3
	s_sub_u32 s22, s22, s24
	s_cselect_b64 s[24:25], -1, 0
	s_cmp_lg_u64 s[24:25], 0
	s_subb_u32 s30, s26, s17
	s_sub_u32 s31, s22, s16
	s_cselect_b64 s[26:27], -1, 0
	s_cmp_lg_u64 s[26:27], 0
	s_subb_u32 s26, s30, 0
	s_cmp_ge_u32 s26, s17
	s_cselect_b32 s27, -1, 0
	s_cmp_ge_u32 s31, s16
	s_cselect_b32 s30, -1, 0
	s_cmp_eq_u32 s26, s17
	s_cselect_b32 s26, s30, s27
	s_add_u32 s27, s3, 1
	s_addc_u32 s30, s28, 0
	s_add_u32 s31, s3, 2
	s_addc_u32 s33, s28, 0
	s_cmp_lg_u32 s26, 0
	s_cselect_b32 s26, s31, s27
	s_cselect_b32 s27, s33, s30
	s_cmp_lg_u64 s[24:25], 0
	s_subb_u32 s23, s23, s29
	s_cmp_ge_u32 s23, s17
	s_cselect_b32 s24, -1, 0
	s_cmp_ge_u32 s22, s16
	s_cselect_b32 s16, -1, 0
	s_cmp_eq_u32 s23, s17
	s_cselect_b32 s16, s16, s24
	s_cmp_lg_u32 s16, 0
	s_cselect_b32 s17, s27, s28
	s_cselect_b32 s16, s26, s3
	s_xor_b64 s[14:15], s[20:21], s[14:15]
	s_xor_b64 s[16:17], s[16:17], s[14:15]
	s_sub_u32 s16, s16, s14
	s_subb_u32 s17, s17, s15
	s_load_dwordx2 s[14:15], s[0:1], 0x10
	s_cbranch_execnz .LBB25_4
.LBB25_3:
	v_cvt_f32_u32_e32 v1, s10
	s_sub_i32 s3, 0, s10
	s_mov_b32 s17, 0
	v_rcp_iflag_f32_e32 v1, v1
	s_nop 0
	v_mul_f32_e32 v1, 0x4f7ffffe, v1
	v_cvt_u32_f32_e32 v1, v1
	s_nop 0
	v_readfirstlane_b32 s16, v1
	s_mul_i32 s3, s3, s16
	s_mul_hi_u32 s3, s16, s3
	s_add_i32 s16, s16, s3
	s_mul_hi_u32 s3, s12, s16
	s_mul_i32 s18, s3, s10
	s_sub_i32 s18, s12, s18
	s_add_i32 s16, s3, 1
	s_sub_i32 s19, s18, s10
	s_cmp_ge_u32 s18, s10
	s_cselect_b32 s3, s16, s3
	s_cselect_b32 s18, s19, s18
	s_add_i32 s16, s3, 1
	s_cmp_ge_u32 s18, s10
	s_cselect_b32 s16, s16, s3
.LBB25_4:
	s_mul_i32 s3, s16, s11
	s_mul_hi_u32 s11, s16, s10
	s_load_dwordx2 s[20:21], s[0:1], 0x8
	s_load_dwordx2 s[18:19], s[0:1], 0x40
	s_add_i32 s3, s11, s3
	s_mul_i32 s11, s17, s10
	s_add_i32 s11, s3, s11
	s_mul_i32 s3, s16, s10
	s_sub_u32 s3, s12, s3
	s_subb_u32 s28, s13, s11
	v_cmp_gt_i32_e32 vcc, s8, v0
	s_mul_hi_u32 s29, s16, s4
	s_mul_i32 s30, s17, s4
	s_mul_i32 s26, s16, s4
	s_mul_hi_u32 s27, s3, s5
	s_mul_i32 s28, s28, s5
	s_mul_i32 s17, s3, s5
	s_and_saveexec_b64 s[10:11], vcc
	s_cbranch_execz .LBB25_7
; %bb.5:
	s_ashr_i32 s22, s6, 31
	s_mul_hi_u32 s23, s6, s2
	s_mul_i32 s22, s22, s2
	s_add_i32 s23, s23, s22
	s_mul_i32 s22, s6, s2
	s_ashr_i32 s6, s4, 31
	s_mul_i32 s6, s16, s6
	s_load_dwordx2 s[12:13], s[0:1], 0x0
	s_load_dword s31, s[0:1], 0x54
	s_add_i32 s6, s29, s6
	s_add_i32 s24, s6, s30
	s_ashr_i32 s6, s5, 31
	s_mul_i32 s6, s3, s6
	s_add_i32 s6, s27, s6
	s_add_i32 s25, s6, s28
	s_lshl_b64 s[22:23], s[22:23], 1
	s_waitcnt lgkmcnt(0)
	s_add_u32 s12, s12, s22
	s_addc_u32 s13, s13, s23
	s_load_dword s6, s[18:19], 0x0
	s_add_u32 s22, s14, s26
	s_addc_u32 s23, s15, s24
	s_add_u32 s22, s22, s17
	s_addc_u32 s23, s23, s25
	s_and_b32 s31, s31, 0xffff
	s_mov_b64 s[24:25], 0
	s_mov_b32 s33, 0x7f800000
	s_mov_b32 s34, 0x43e00000
	v_mov_b32_e32 v1, 0xc3e00000
	v_mov_b32_e32 v2, v0
.LBB25_6:                               ; =>This Inner Loop Header: Depth=1
	v_ashrrev_i32_e32 v3, 31, v2
	v_lshl_add_u64 v[4:5], v[2:3], 1, s[12:13]
	global_load_ushort v4, v[4:5], off
	v_mov_b32_e32 v7, 0
	s_waitcnt vmcnt(0)
	v_lshlrev_b32_e32 v4, 16, v4
	s_waitcnt lgkmcnt(0)
	v_div_scale_f32 v5, s[36:37], s6, s6, v4
	v_rcp_f32_e32 v6, v5
	v_div_scale_f32 v8, vcc, v4, s6, v4
	v_fma_f32 v9, -v5, v6, 1.0
	v_fmac_f32_e32 v6, v9, v6
	v_mul_f32_e32 v9, v8, v6
	v_fma_f32 v10, -v5, v9, v8
	v_fmac_f32_e32 v9, v10, v6
	v_fma_f32 v5, -v5, v9, v8
	v_div_fmas_f32 v5, v5, v6, v9
	v_div_fixup_f32 v4, v5, s6, v4
	v_med3_f32 v5, v4, s34, v1
	v_cmp_nlg_f32_e64 vcc, |v4|, s33
	s_nop 1
	v_cndmask_b32_e32 v4, v5, v4, vcc
	v_cvt_pk_fp8_f32 v7, v4, v4
	v_lshl_add_u64 v[4:5], s[22:23], 0, v[2:3]
	v_add_u32_e32 v2, s31, v2
	v_cmp_le_i32_e32 vcc, s8, v2
	s_or_b64 s[24:25], vcc, s[24:25]
	global_store_byte v[4:5], v7, off
	s_andn2_b64 exec, exec, s[24:25]
	s_cbranch_execnz .LBB25_6
.LBB25_7:
	s_or_b64 exec, exec, s[10:11]
	v_cmp_gt_i32_e32 vcc, s9, v0
	s_and_saveexec_b64 s[10:11], vcc
	s_cbranch_execz .LBB25_10
; %bb.8:
	s_ashr_i32 s6, s7, 31
	s_mul_hi_u32 s10, s7, s2
	s_mul_i32 s6, s6, s2
	s_add_i32 s11, s10, s6
	s_mul_i32 s10, s7, s2
	s_ashr_i32 s2, s4, 31
	s_mul_i32 s2, s16, s2
	s_add_i32 s2, s29, s2
	s_add_i32 s4, s2, s30
	s_ashr_i32 s2, s5, 31
	s_mul_i32 s3, s3, s2
	s_add_i32 s2, s27, s3
	s_add_i32 s5, s2, s28
	s_ashr_i32 s7, s8, 31
	s_lshl_b64 s[2:3], s[10:11], 1
	s_waitcnt lgkmcnt(0)
	s_add_u32 s2, s20, s2
	s_addc_u32 s3, s21, s3
	s_add_u32 s10, s14, s26
	s_load_dword s11, s[0:1], 0x54
	s_load_dword s6, s[18:19], 0x0
	s_addc_u32 s4, s15, s4
	s_add_u32 s0, s10, s17
	s_addc_u32 s1, s4, s5
	s_add_u32 s0, s0, s8
	s_addc_u32 s1, s1, s7
	s_waitcnt lgkmcnt(0)
	s_and_b32 s7, s11, 0xffff
	s_mov_b64 s[4:5], 0
	s_mov_b32 s8, 0x7f800000
	s_mov_b32 s10, 0x43e00000
	v_mov_b32_e32 v2, 0xc3e00000
.LBB25_9:                               ; =>This Inner Loop Header: Depth=1
	v_ashrrev_i32_e32 v1, 31, v0
	v_lshl_add_u64 v[4:5], v[0:1], 1, s[2:3]
	global_load_ushort v3, v[4:5], off
	v_mov_b32_e32 v6, 0
	s_waitcnt vmcnt(0)
	v_lshlrev_b32_e32 v3, 16, v3
	v_div_scale_f32 v4, s[12:13], s6, s6, v3
	v_rcp_f32_e32 v5, v4
	v_div_scale_f32 v7, vcc, v3, s6, v3
	v_fma_f32 v8, -v4, v5, 1.0
	v_fmac_f32_e32 v5, v8, v5
	v_mul_f32_e32 v8, v7, v5
	v_fma_f32 v9, -v4, v8, v7
	v_fmac_f32_e32 v8, v9, v5
	v_fma_f32 v4, -v4, v8, v7
	v_div_fmas_f32 v4, v4, v5, v8
	v_div_fixup_f32 v3, v4, s6, v3
	v_med3_f32 v4, v3, s10, v2
	v_cmp_nlg_f32_e64 vcc, |v3|, s8
	s_nop 1
	v_cndmask_b32_e32 v3, v4, v3, vcc
	v_cvt_pk_fp8_f32 v6, v3, v3
	v_lshl_add_u64 v[4:5], s[0:1], 0, v[0:1]
	v_add_u32_e32 v0, s7, v0
	v_cmp_le_i32_e32 vcc, s9, v0
	s_or_b64 s[4:5], vcc, s[4:5]
	global_store_byte v[4:5], v6, off
	s_andn2_b64 exec, exec, s[4:5]
	s_cbranch_execnz .LBB25_9
.LBB25_10:
	s_endpgm
.LBB25_11:
                                        ; implicit-def: $sgpr16_sgpr17
	s_load_dwordx2 s[14:15], s[0:1], 0x10
	s_branch .LBB25_3
	.section	.rodata,"a",@progbits
	.p2align	6, 0x0
	.amdhsa_kernel _ZN4vllm27concat_and_cache_mla_kernelI14__hip_bfloat16hLNS_18Fp8KVCacheDataTypeE1EEEvPKT_S5_PT0_PKliiiiiiiPKf
		.amdhsa_group_segment_fixed_size 0
		.amdhsa_private_segment_fixed_size 0
		.amdhsa_kernarg_size 328
		.amdhsa_user_sgpr_count 2
		.amdhsa_user_sgpr_dispatch_ptr 0
		.amdhsa_user_sgpr_queue_ptr 0
		.amdhsa_user_sgpr_kernarg_segment_ptr 1
		.amdhsa_user_sgpr_dispatch_id 0
		.amdhsa_user_sgpr_kernarg_preload_length 0
		.amdhsa_user_sgpr_kernarg_preload_offset 0
		.amdhsa_user_sgpr_private_segment_size 0
		.amdhsa_uses_dynamic_stack 0
		.amdhsa_enable_private_segment 0
		.amdhsa_system_sgpr_workgroup_id_x 1
		.amdhsa_system_sgpr_workgroup_id_y 0
		.amdhsa_system_sgpr_workgroup_id_z 0
		.amdhsa_system_sgpr_workgroup_info 0
		.amdhsa_system_vgpr_workitem_id 0
		.amdhsa_next_free_vgpr 11
		.amdhsa_next_free_sgpr 38
		.amdhsa_accum_offset 12
		.amdhsa_reserve_vcc 1
		.amdhsa_float_round_mode_32 0
		.amdhsa_float_round_mode_16_64 0
		.amdhsa_float_denorm_mode_32 3
		.amdhsa_float_denorm_mode_16_64 3
		.amdhsa_dx10_clamp 1
		.amdhsa_ieee_mode 1
		.amdhsa_fp16_overflow 0
		.amdhsa_tg_split 0
		.amdhsa_exception_fp_ieee_invalid_op 0
		.amdhsa_exception_fp_denorm_src 0
		.amdhsa_exception_fp_ieee_div_zero 0
		.amdhsa_exception_fp_ieee_overflow 0
		.amdhsa_exception_fp_ieee_underflow 0
		.amdhsa_exception_fp_ieee_inexact 0
		.amdhsa_exception_int_div_zero 0
	.end_amdhsa_kernel
	.section	.text._ZN4vllm27concat_and_cache_mla_kernelI14__hip_bfloat16hLNS_18Fp8KVCacheDataTypeE1EEEvPKT_S5_PT0_PKliiiiiiiPKf,"axG",@progbits,_ZN4vllm27concat_and_cache_mla_kernelI14__hip_bfloat16hLNS_18Fp8KVCacheDataTypeE1EEEvPKT_S5_PT0_PKliiiiiiiPKf,comdat
.Lfunc_end25:
	.size	_ZN4vllm27concat_and_cache_mla_kernelI14__hip_bfloat16hLNS_18Fp8KVCacheDataTypeE1EEEvPKT_S5_PT0_PKliiiiiiiPKf, .Lfunc_end25-_ZN4vllm27concat_and_cache_mla_kernelI14__hip_bfloat16hLNS_18Fp8KVCacheDataTypeE1EEEvPKT_S5_PT0_PKliiiiiiiPKf
                                        ; -- End function
	.set _ZN4vllm27concat_and_cache_mla_kernelI14__hip_bfloat16hLNS_18Fp8KVCacheDataTypeE1EEEvPKT_S5_PT0_PKliiiiiiiPKf.num_vgpr, 11
	.set _ZN4vllm27concat_and_cache_mla_kernelI14__hip_bfloat16hLNS_18Fp8KVCacheDataTypeE1EEEvPKT_S5_PT0_PKliiiiiiiPKf.num_agpr, 0
	.set _ZN4vllm27concat_and_cache_mla_kernelI14__hip_bfloat16hLNS_18Fp8KVCacheDataTypeE1EEEvPKT_S5_PT0_PKliiiiiiiPKf.numbered_sgpr, 38
	.set _ZN4vllm27concat_and_cache_mla_kernelI14__hip_bfloat16hLNS_18Fp8KVCacheDataTypeE1EEEvPKT_S5_PT0_PKliiiiiiiPKf.num_named_barrier, 0
	.set _ZN4vllm27concat_and_cache_mla_kernelI14__hip_bfloat16hLNS_18Fp8KVCacheDataTypeE1EEEvPKT_S5_PT0_PKliiiiiiiPKf.private_seg_size, 0
	.set _ZN4vllm27concat_and_cache_mla_kernelI14__hip_bfloat16hLNS_18Fp8KVCacheDataTypeE1EEEvPKT_S5_PT0_PKliiiiiiiPKf.uses_vcc, 1
	.set _ZN4vllm27concat_and_cache_mla_kernelI14__hip_bfloat16hLNS_18Fp8KVCacheDataTypeE1EEEvPKT_S5_PT0_PKliiiiiiiPKf.uses_flat_scratch, 0
	.set _ZN4vllm27concat_and_cache_mla_kernelI14__hip_bfloat16hLNS_18Fp8KVCacheDataTypeE1EEEvPKT_S5_PT0_PKliiiiiiiPKf.has_dyn_sized_stack, 0
	.set _ZN4vllm27concat_and_cache_mla_kernelI14__hip_bfloat16hLNS_18Fp8KVCacheDataTypeE1EEEvPKT_S5_PT0_PKliiiiiiiPKf.has_recursion, 0
	.set _ZN4vllm27concat_and_cache_mla_kernelI14__hip_bfloat16hLNS_18Fp8KVCacheDataTypeE1EEEvPKT_S5_PT0_PKliiiiiiiPKf.has_indirect_call, 0
	.section	.AMDGPU.csdata,"",@progbits
; Kernel info:
; codeLenInByte = 1496
; TotalNumSgprs: 44
; NumVgprs: 11
; NumAgprs: 0
; TotalNumVgprs: 11
; ScratchSize: 0
; MemoryBound: 0
; FloatMode: 240
; IeeeMode: 1
; LDSByteSize: 0 bytes/workgroup (compile time only)
; SGPRBlocks: 5
; VGPRBlocks: 1
; NumSGPRsForWavesPerEU: 44
; NumVGPRsForWavesPerEU: 11
; AccumOffset: 12
; Occupancy: 8
; WaveLimiterHint : 1
; COMPUTE_PGM_RSRC2:SCRATCH_EN: 0
; COMPUTE_PGM_RSRC2:USER_SGPR: 2
; COMPUTE_PGM_RSRC2:TRAP_HANDLER: 0
; COMPUTE_PGM_RSRC2:TGID_X_EN: 1
; COMPUTE_PGM_RSRC2:TGID_Y_EN: 0
; COMPUTE_PGM_RSRC2:TGID_Z_EN: 0
; COMPUTE_PGM_RSRC2:TIDIG_COMP_CNT: 0
; COMPUTE_PGM_RSRC3_GFX90A:ACCUM_OFFSET: 2
; COMPUTE_PGM_RSRC3_GFX90A:TG_SPLIT: 0
	.text
	.p2align	2                               ; -- Begin function __ockl_fprintf_append_string_n
	.type	__ockl_fprintf_append_string_n,@function
__ockl_fprintf_append_string_n:         ; @__ockl_fprintf_append_string_n
; %bb.0:
	s_waitcnt vmcnt(0) expcnt(0) lgkmcnt(0)
	v_or_b32_e32 v2, 2, v0
	v_cmp_eq_u32_e32 vcc, 0, v6
	s_getpc_b64 s[0:1]
	s_add_u32 s0, s0, .str@rel32@lo+4
	s_addc_u32 s1, s1, .str@rel32@hi+12
	s_mov_b32 s16, 0
	v_cndmask_b32_e32 v3, v2, v0, vcc
	s_mov_b64 s[2:3], 0
	s_cmp_lg_u64 s[0:1], 0
	v_mbcnt_lo_u32_b32 v33, -1, 0
	s_cbranch_scc0 .LBB26_112
; %bb.1:
	s_load_dwordx2 s[4:5], s[8:9], 0x50
	v_and_b32_e32 v0, -3, v3
	s_getpc_b64 s[0:1]
	s_add_u32 s0, s0, .str@rel32@lo+4
	s_addc_u32 s1, s1, .str@rel32@hi+12
	v_and_b32_e32 v2, 2, v3
	v_mov_b32_e32 v31, 0
	v_mbcnt_hi_u32_b32 v32, -1, v33
	v_mov_b64_e32 v[34:35], s[0:1]
	s_movk_i32 s17, 0x1e0
	v_mov_b32_e32 v8, 2
	v_mov_b32_e32 v9, 1
	v_mov_b64_e32 v[10:11], v[0:1]
	s_branch .LBB26_3
.LBB26_2:                               ;   in Loop: Header=BB26_3 Depth=1
	s_or_b64 exec, exec, s[10:11]
	v_sub_co_u32_e32 v4, vcc, v4, v36
	v_lshl_add_u64 v[34:35], v[34:35], 0, v[36:37]
	s_nop 0
	v_subb_co_u32_e32 v5, vcc, v5, v37, vcc
	v_cmp_eq_u64_e32 vcc, 0, v[4:5]
	s_or_b64 s[2:3], vcc, s[2:3]
	s_andn2_b64 exec, exec, s[2:3]
	s_cbranch_execz .LBB26_85
.LBB26_3:                               ; =>This Loop Header: Depth=1
                                        ;     Child Loop BB26_6 Depth 2
                                        ;     Child Loop BB26_14 Depth 2
	;; [unrolled: 1-line block ×11, first 2 shown]
	v_cmp_gt_u64_e32 vcc, 56, v[4:5]
	v_lshl_add_u64 v[16:17], v[34:35], 0, 8
	s_nop 0
	v_cndmask_b32_e32 v37, 0, v5, vcc
	v_cndmask_b32_e32 v36, 56, v4, vcc
	v_cmp_gt_u64_e32 vcc, 8, v[4:5]
	s_and_saveexec_b64 s[0:1], vcc
	s_xor_b64 s[0:1], exec, s[0:1]
	s_cbranch_execz .LBB26_9
; %bb.4:                                ;   in Loop: Header=BB26_3 Depth=1
	s_waitcnt vmcnt(0)
	v_mov_b64_e32 v[12:13], 0
	v_cmp_ne_u64_e32 vcc, 0, v[4:5]
	s_and_saveexec_b64 s[6:7], vcc
	s_cbranch_execz .LBB26_8
; %bb.5:                                ;   in Loop: Header=BB26_3 Depth=1
	v_lshlrev_b64 v[6:7], 3, v[36:37]
	s_mov_b64 s[10:11], 0
	v_mov_b64_e32 v[12:13], 0
	v_mov_b64_e32 v[14:15], v[34:35]
	s_mov_b64 s[12:13], 0
.LBB26_6:                               ;   Parent Loop BB26_3 Depth=1
                                        ; =>  This Inner Loop Header: Depth=2
	global_load_ubyte v0, v[14:15], off
	v_mov_b32_e32 v17, s16
	v_lshl_add_u64 v[14:15], v[14:15], 0, 1
	s_waitcnt vmcnt(0)
	v_and_b32_e32 v16, 0xffff, v0
	v_lshlrev_b64 v[16:17], s12, v[16:17]
	s_add_u32 s12, s12, 8
	s_addc_u32 s13, s13, 0
	v_cmp_eq_u32_e32 vcc, s12, v6
	v_or_b32_e32 v13, v17, v13
	s_or_b64 s[10:11], vcc, s[10:11]
	v_or_b32_e32 v12, v16, v12
	s_andn2_b64 exec, exec, s[10:11]
	s_cbranch_execnz .LBB26_6
; %bb.7:                                ;   in Loop: Header=BB26_3 Depth=1
	s_or_b64 exec, exec, s[10:11]
.LBB26_8:                               ;   in Loop: Header=BB26_3 Depth=1
	s_or_b64 exec, exec, s[6:7]
	v_mov_b64_e32 v[16:17], v[34:35]
.LBB26_9:                               ;   in Loop: Header=BB26_3 Depth=1
	s_or_saveexec_b64 s[0:1], s[0:1]
	v_mov_b32_e32 v0, 0
	s_xor_b64 exec, exec, s[0:1]
	s_cbranch_execz .LBB26_11
; %bb.10:                               ;   in Loop: Header=BB26_3 Depth=1
	global_load_dwordx2 v[12:13], v[34:35], off
	v_add_u32_e32 v0, -8, v36
.LBB26_11:                              ;   in Loop: Header=BB26_3 Depth=1
	s_or_b64 exec, exec, s[0:1]
	v_cmp_gt_u32_e32 vcc, 8, v0
	v_lshl_add_u64 v[6:7], v[16:17], 0, 8
                                        ; implicit-def: $vgpr14_vgpr15
	s_and_saveexec_b64 s[0:1], vcc
	s_xor_b64 s[0:1], exec, s[0:1]
	s_cbranch_execz .LBB26_17
; %bb.12:                               ;   in Loop: Header=BB26_3 Depth=1
	v_cmp_ne_u32_e32 vcc, 0, v0
	v_mov_b64_e32 v[14:15], 0
	s_and_saveexec_b64 s[6:7], vcc
	s_cbranch_execz .LBB26_16
; %bb.13:                               ;   in Loop: Header=BB26_3 Depth=1
	s_mov_b64 s[10:11], 0
	v_mov_b64_e32 v[14:15], 0
	s_mov_b64 s[12:13], 0
	s_mov_b64 s[14:15], 0
.LBB26_14:                              ;   Parent Loop BB26_3 Depth=1
                                        ; =>  This Inner Loop Header: Depth=2
	v_lshl_add_u64 v[6:7], v[16:17], 0, s[14:15]
	global_load_ubyte v6, v[6:7], off
	s_add_u32 s14, s14, 1
	v_mov_b32_e32 v7, s16
	s_addc_u32 s15, s15, 0
	v_cmp_eq_u32_e32 vcc, s14, v0
	s_waitcnt vmcnt(0)
	v_and_b32_e32 v6, 0xffff, v6
	v_lshlrev_b64 v[6:7], s12, v[6:7]
	s_add_u32 s12, s12, 8
	s_addc_u32 s13, s13, 0
	v_or_b32_e32 v15, v7, v15
	s_or_b64 s[10:11], vcc, s[10:11]
	v_or_b32_e32 v14, v6, v14
	s_andn2_b64 exec, exec, s[10:11]
	s_cbranch_execnz .LBB26_14
; %bb.15:                               ;   in Loop: Header=BB26_3 Depth=1
	s_or_b64 exec, exec, s[10:11]
.LBB26_16:                              ;   in Loop: Header=BB26_3 Depth=1
	s_or_b64 exec, exec, s[6:7]
	v_mov_b64_e32 v[6:7], v[16:17]
                                        ; implicit-def: $vgpr0
.LBB26_17:                              ;   in Loop: Header=BB26_3 Depth=1
	s_or_saveexec_b64 s[0:1], s[0:1]
	v_mov_b32_e32 v18, 0
	s_xor_b64 exec, exec, s[0:1]
	s_cbranch_execz .LBB26_19
; %bb.18:                               ;   in Loop: Header=BB26_3 Depth=1
	global_load_dwordx2 v[14:15], v[16:17], off
	v_add_u32_e32 v18, -8, v0
.LBB26_19:                              ;   in Loop: Header=BB26_3 Depth=1
	s_or_b64 exec, exec, s[0:1]
	v_cmp_gt_u32_e32 vcc, 8, v18
	v_lshl_add_u64 v[20:21], v[6:7], 0, 8
	s_and_saveexec_b64 s[0:1], vcc
	s_xor_b64 s[0:1], exec, s[0:1]
	s_cbranch_execz .LBB26_25
; %bb.20:                               ;   in Loop: Header=BB26_3 Depth=1
	v_cmp_ne_u32_e32 vcc, 0, v18
	v_mov_b64_e32 v[16:17], 0
	s_and_saveexec_b64 s[6:7], vcc
	s_cbranch_execz .LBB26_24
; %bb.21:                               ;   in Loop: Header=BB26_3 Depth=1
	s_mov_b64 s[10:11], 0
	v_mov_b64_e32 v[16:17], 0
	s_mov_b64 s[12:13], 0
	s_mov_b64 s[14:15], 0
.LBB26_22:                              ;   Parent Loop BB26_3 Depth=1
                                        ; =>  This Inner Loop Header: Depth=2
	v_lshl_add_u64 v[20:21], v[6:7], 0, s[14:15]
	global_load_ubyte v0, v[20:21], off
	s_add_u32 s14, s14, 1
	v_mov_b32_e32 v21, s16
	s_addc_u32 s15, s15, 0
	v_cmp_eq_u32_e32 vcc, s14, v18
	s_waitcnt vmcnt(0)
	v_and_b32_e32 v20, 0xffff, v0
	v_lshlrev_b64 v[20:21], s12, v[20:21]
	s_add_u32 s12, s12, 8
	s_addc_u32 s13, s13, 0
	v_or_b32_e32 v17, v21, v17
	s_or_b64 s[10:11], vcc, s[10:11]
	v_or_b32_e32 v16, v20, v16
	s_andn2_b64 exec, exec, s[10:11]
	s_cbranch_execnz .LBB26_22
; %bb.23:                               ;   in Loop: Header=BB26_3 Depth=1
	s_or_b64 exec, exec, s[10:11]
.LBB26_24:                              ;   in Loop: Header=BB26_3 Depth=1
	s_or_b64 exec, exec, s[6:7]
	v_mov_b64_e32 v[20:21], v[6:7]
                                        ; implicit-def: $vgpr18
.LBB26_25:                              ;   in Loop: Header=BB26_3 Depth=1
	s_or_saveexec_b64 s[0:1], s[0:1]
	v_mov_b32_e32 v0, 0
	s_xor_b64 exec, exec, s[0:1]
	s_cbranch_execz .LBB26_27
; %bb.26:                               ;   in Loop: Header=BB26_3 Depth=1
	global_load_dwordx2 v[16:17], v[6:7], off
	v_add_u32_e32 v0, -8, v18
.LBB26_27:                              ;   in Loop: Header=BB26_3 Depth=1
	s_or_b64 exec, exec, s[0:1]
	v_cmp_gt_u32_e32 vcc, 8, v0
	v_lshl_add_u64 v[6:7], v[20:21], 0, 8
                                        ; implicit-def: $vgpr18_vgpr19
	s_and_saveexec_b64 s[0:1], vcc
	s_xor_b64 s[0:1], exec, s[0:1]
	s_cbranch_execz .LBB26_33
; %bb.28:                               ;   in Loop: Header=BB26_3 Depth=1
	v_cmp_ne_u32_e32 vcc, 0, v0
	v_mov_b64_e32 v[18:19], 0
	s_and_saveexec_b64 s[6:7], vcc
	s_cbranch_execz .LBB26_32
; %bb.29:                               ;   in Loop: Header=BB26_3 Depth=1
	s_mov_b64 s[10:11], 0
	v_mov_b64_e32 v[18:19], 0
	s_mov_b64 s[12:13], 0
	s_mov_b64 s[14:15], 0
.LBB26_30:                              ;   Parent Loop BB26_3 Depth=1
                                        ; =>  This Inner Loop Header: Depth=2
	v_lshl_add_u64 v[6:7], v[20:21], 0, s[14:15]
	global_load_ubyte v6, v[6:7], off
	s_add_u32 s14, s14, 1
	v_mov_b32_e32 v7, s16
	s_addc_u32 s15, s15, 0
	v_cmp_eq_u32_e32 vcc, s14, v0
	s_waitcnt vmcnt(0)
	v_and_b32_e32 v6, 0xffff, v6
	v_lshlrev_b64 v[6:7], s12, v[6:7]
	s_add_u32 s12, s12, 8
	s_addc_u32 s13, s13, 0
	v_or_b32_e32 v19, v7, v19
	s_or_b64 s[10:11], vcc, s[10:11]
	v_or_b32_e32 v18, v6, v18
	s_andn2_b64 exec, exec, s[10:11]
	s_cbranch_execnz .LBB26_30
; %bb.31:                               ;   in Loop: Header=BB26_3 Depth=1
	s_or_b64 exec, exec, s[10:11]
.LBB26_32:                              ;   in Loop: Header=BB26_3 Depth=1
	s_or_b64 exec, exec, s[6:7]
	v_mov_b64_e32 v[6:7], v[20:21]
                                        ; implicit-def: $vgpr0
.LBB26_33:                              ;   in Loop: Header=BB26_3 Depth=1
	s_or_saveexec_b64 s[0:1], s[0:1]
	v_mov_b32_e32 v22, 0
	s_xor_b64 exec, exec, s[0:1]
	s_cbranch_execz .LBB26_35
; %bb.34:                               ;   in Loop: Header=BB26_3 Depth=1
	global_load_dwordx2 v[18:19], v[20:21], off
	v_add_u32_e32 v22, -8, v0
.LBB26_35:                              ;   in Loop: Header=BB26_3 Depth=1
	s_or_b64 exec, exec, s[0:1]
	v_cmp_gt_u32_e32 vcc, 8, v22
	v_lshl_add_u64 v[24:25], v[6:7], 0, 8
	s_and_saveexec_b64 s[0:1], vcc
	s_xor_b64 s[0:1], exec, s[0:1]
	s_cbranch_execz .LBB26_41
; %bb.36:                               ;   in Loop: Header=BB26_3 Depth=1
	v_cmp_ne_u32_e32 vcc, 0, v22
	v_mov_b64_e32 v[20:21], 0
	s_and_saveexec_b64 s[6:7], vcc
	s_cbranch_execz .LBB26_40
; %bb.37:                               ;   in Loop: Header=BB26_3 Depth=1
	s_mov_b64 s[10:11], 0
	v_mov_b64_e32 v[20:21], 0
	s_mov_b64 s[12:13], 0
	s_mov_b64 s[14:15], 0
.LBB26_38:                              ;   Parent Loop BB26_3 Depth=1
                                        ; =>  This Inner Loop Header: Depth=2
	v_lshl_add_u64 v[24:25], v[6:7], 0, s[14:15]
	global_load_ubyte v0, v[24:25], off
	s_add_u32 s14, s14, 1
	v_mov_b32_e32 v25, s16
	s_addc_u32 s15, s15, 0
	v_cmp_eq_u32_e32 vcc, s14, v22
	s_waitcnt vmcnt(0)
	v_and_b32_e32 v24, 0xffff, v0
	v_lshlrev_b64 v[24:25], s12, v[24:25]
	s_add_u32 s12, s12, 8
	s_addc_u32 s13, s13, 0
	v_or_b32_e32 v21, v25, v21
	s_or_b64 s[10:11], vcc, s[10:11]
	v_or_b32_e32 v20, v24, v20
	s_andn2_b64 exec, exec, s[10:11]
	s_cbranch_execnz .LBB26_38
; %bb.39:                               ;   in Loop: Header=BB26_3 Depth=1
	s_or_b64 exec, exec, s[10:11]
.LBB26_40:                              ;   in Loop: Header=BB26_3 Depth=1
	s_or_b64 exec, exec, s[6:7]
	v_mov_b64_e32 v[24:25], v[6:7]
                                        ; implicit-def: $vgpr22
.LBB26_41:                              ;   in Loop: Header=BB26_3 Depth=1
	s_or_saveexec_b64 s[0:1], s[0:1]
	v_mov_b32_e32 v0, 0
	s_xor_b64 exec, exec, s[0:1]
	s_cbranch_execz .LBB26_43
; %bb.42:                               ;   in Loop: Header=BB26_3 Depth=1
	global_load_dwordx2 v[20:21], v[6:7], off
	v_add_u32_e32 v0, -8, v22
.LBB26_43:                              ;   in Loop: Header=BB26_3 Depth=1
	s_or_b64 exec, exec, s[0:1]
	v_cmp_gt_u32_e32 vcc, 8, v0
	v_lshl_add_u64 v[6:7], v[24:25], 0, 8
                                        ; implicit-def: $vgpr22_vgpr23
	s_and_saveexec_b64 s[0:1], vcc
	s_xor_b64 s[0:1], exec, s[0:1]
	s_cbranch_execz .LBB26_49
; %bb.44:                               ;   in Loop: Header=BB26_3 Depth=1
	v_cmp_ne_u32_e32 vcc, 0, v0
	v_mov_b64_e32 v[22:23], 0
	s_and_saveexec_b64 s[6:7], vcc
	s_cbranch_execz .LBB26_48
; %bb.45:                               ;   in Loop: Header=BB26_3 Depth=1
	s_mov_b64 s[10:11], 0
	v_mov_b64_e32 v[22:23], 0
	s_mov_b64 s[12:13], 0
	s_mov_b64 s[14:15], 0
.LBB26_46:                              ;   Parent Loop BB26_3 Depth=1
                                        ; =>  This Inner Loop Header: Depth=2
	v_lshl_add_u64 v[6:7], v[24:25], 0, s[14:15]
	global_load_ubyte v6, v[6:7], off
	s_add_u32 s14, s14, 1
	v_mov_b32_e32 v7, s16
	s_addc_u32 s15, s15, 0
	v_cmp_eq_u32_e32 vcc, s14, v0
	s_waitcnt vmcnt(0)
	v_and_b32_e32 v6, 0xffff, v6
	v_lshlrev_b64 v[6:7], s12, v[6:7]
	s_add_u32 s12, s12, 8
	s_addc_u32 s13, s13, 0
	v_or_b32_e32 v23, v7, v23
	s_or_b64 s[10:11], vcc, s[10:11]
	v_or_b32_e32 v22, v6, v22
	s_andn2_b64 exec, exec, s[10:11]
	s_cbranch_execnz .LBB26_46
; %bb.47:                               ;   in Loop: Header=BB26_3 Depth=1
	s_or_b64 exec, exec, s[10:11]
.LBB26_48:                              ;   in Loop: Header=BB26_3 Depth=1
	s_or_b64 exec, exec, s[6:7]
	v_mov_b64_e32 v[6:7], v[24:25]
                                        ; implicit-def: $vgpr0
.LBB26_49:                              ;   in Loop: Header=BB26_3 Depth=1
	s_or_saveexec_b64 s[0:1], s[0:1]
	v_mov_b32_e32 v26, 0
	s_xor_b64 exec, exec, s[0:1]
	s_cbranch_execz .LBB26_51
; %bb.50:                               ;   in Loop: Header=BB26_3 Depth=1
	global_load_dwordx2 v[22:23], v[24:25], off
	v_add_u32_e32 v26, -8, v0
.LBB26_51:                              ;   in Loop: Header=BB26_3 Depth=1
	s_or_b64 exec, exec, s[0:1]
	v_cmp_gt_u32_e32 vcc, 8, v26
	s_and_saveexec_b64 s[0:1], vcc
	s_xor_b64 s[0:1], exec, s[0:1]
	s_cbranch_execz .LBB26_57
; %bb.52:                               ;   in Loop: Header=BB26_3 Depth=1
	v_cmp_ne_u32_e32 vcc, 0, v26
	v_mov_b64_e32 v[24:25], 0
	s_and_saveexec_b64 s[6:7], vcc
	s_cbranch_execz .LBB26_56
; %bb.53:                               ;   in Loop: Header=BB26_3 Depth=1
	s_mov_b64 s[10:11], 0
	v_mov_b64_e32 v[24:25], 0
	s_mov_b64 s[12:13], 0
.LBB26_54:                              ;   Parent Loop BB26_3 Depth=1
                                        ; =>  This Inner Loop Header: Depth=2
	global_load_ubyte v0, v[6:7], off
	v_mov_b32_e32 v29, s16
	v_add_u32_e32 v26, -1, v26
	v_cmp_eq_u32_e32 vcc, 0, v26
	v_lshl_add_u64 v[6:7], v[6:7], 0, 1
	s_waitcnt vmcnt(0)
	v_and_b32_e32 v28, 0xffff, v0
	v_lshlrev_b64 v[28:29], s12, v[28:29]
	s_add_u32 s12, s12, 8
	s_addc_u32 s13, s13, 0
	v_or_b32_e32 v25, v29, v25
	s_or_b64 s[10:11], vcc, s[10:11]
	v_or_b32_e32 v24, v28, v24
	s_andn2_b64 exec, exec, s[10:11]
	s_cbranch_execnz .LBB26_54
; %bb.55:                               ;   in Loop: Header=BB26_3 Depth=1
	s_or_b64 exec, exec, s[10:11]
.LBB26_56:                              ;   in Loop: Header=BB26_3 Depth=1
	s_or_b64 exec, exec, s[6:7]
                                        ; implicit-def: $vgpr6_vgpr7
.LBB26_57:                              ;   in Loop: Header=BB26_3 Depth=1
	s_andn2_saveexec_b64 s[0:1], s[0:1]
	s_cbranch_execz .LBB26_59
; %bb.58:                               ;   in Loop: Header=BB26_3 Depth=1
	global_load_dwordx2 v[24:25], v[6:7], off
.LBB26_59:                              ;   in Loop: Header=BB26_3 Depth=1
	s_or_b64 exec, exec, s[0:1]
	v_readfirstlane_b32 s0, v32
	v_mov_b64_e32 v[6:7], 0
	s_nop 0
	v_cmp_eq_u32_e64 s[0:1], s0, v32
	s_and_saveexec_b64 s[6:7], s[0:1]
	s_cbranch_execz .LBB26_65
; %bb.60:                               ;   in Loop: Header=BB26_3 Depth=1
	s_waitcnt lgkmcnt(0)
	global_load_dwordx2 v[28:29], v31, s[4:5] offset:24 sc0 sc1
	s_waitcnt vmcnt(0)
	buffer_inv sc0 sc1
	global_load_dwordx2 v[6:7], v31, s[4:5] offset:40
	global_load_dwordx2 v[26:27], v31, s[4:5]
	s_waitcnt vmcnt(1)
	v_and_b32_e32 v0, v6, v28
	v_and_b32_e32 v6, v7, v29
	v_mul_lo_u32 v6, v6, 24
	v_mul_hi_u32 v7, v0, 24
	v_add_u32_e32 v7, v7, v6
	v_mul_lo_u32 v6, v0, 24
	s_waitcnt vmcnt(0)
	v_lshl_add_u64 v[6:7], v[26:27], 0, v[6:7]
	global_load_dwordx2 v[26:27], v[6:7], off sc0 sc1
	s_waitcnt vmcnt(0)
	global_atomic_cmpswap_x2 v[6:7], v31, v[26:29], s[4:5] offset:24 sc0 sc1
	s_waitcnt vmcnt(0)
	buffer_inv sc0 sc1
	v_cmp_ne_u64_e32 vcc, v[6:7], v[28:29]
	s_and_saveexec_b64 s[10:11], vcc
	s_cbranch_execz .LBB26_64
; %bb.61:                               ;   in Loop: Header=BB26_3 Depth=1
	s_mov_b64 s[12:13], 0
.LBB26_62:                              ;   Parent Loop BB26_3 Depth=1
                                        ; =>  This Inner Loop Header: Depth=2
	s_sleep 1
	global_load_dwordx2 v[26:27], v31, s[4:5] offset:40
	global_load_dwordx2 v[38:39], v31, s[4:5]
	v_mov_b64_e32 v[28:29], v[6:7]
	s_waitcnt vmcnt(1)
	v_and_b32_e32 v0, v26, v28
	s_waitcnt vmcnt(0)
	v_mad_u64_u32 v[6:7], s[14:15], v0, 24, v[38:39]
	v_and_b32_e32 v27, v27, v29
	v_mov_b32_e32 v0, v7
	v_mad_u64_u32 v[26:27], s[14:15], v27, 24, v[0:1]
	v_mov_b32_e32 v7, v26
	global_load_dwordx2 v[26:27], v[6:7], off sc0 sc1
	s_waitcnt vmcnt(0)
	global_atomic_cmpswap_x2 v[6:7], v31, v[26:29], s[4:5] offset:24 sc0 sc1
	s_waitcnt vmcnt(0)
	buffer_inv sc0 sc1
	v_cmp_eq_u64_e32 vcc, v[6:7], v[28:29]
	s_or_b64 s[12:13], vcc, s[12:13]
	s_andn2_b64 exec, exec, s[12:13]
	s_cbranch_execnz .LBB26_62
; %bb.63:                               ;   in Loop: Header=BB26_3 Depth=1
	s_or_b64 exec, exec, s[12:13]
.LBB26_64:                              ;   in Loop: Header=BB26_3 Depth=1
	s_or_b64 exec, exec, s[10:11]
.LBB26_65:                              ;   in Loop: Header=BB26_3 Depth=1
	s_or_b64 exec, exec, s[6:7]
	s_waitcnt lgkmcnt(0)
	global_load_dwordx2 v[38:39], v31, s[4:5] offset:40
	global_load_dwordx4 v[26:29], v31, s[4:5]
	v_readfirstlane_b32 s7, v7
	v_readfirstlane_b32 s6, v6
	s_mov_b64 s[10:11], exec
	s_waitcnt vmcnt(1)
	v_readfirstlane_b32 s12, v38
	v_readfirstlane_b32 s13, v39
	s_and_b64 s[12:13], s[12:13], s[6:7]
	s_mul_i32 s14, s13, 24
	s_mul_hi_u32 s15, s12, 24
	s_add_i32 s15, s15, s14
	s_mul_i32 s14, s12, 24
	s_waitcnt vmcnt(0)
	v_lshl_add_u64 v[38:39], v[26:27], 0, s[14:15]
	s_and_saveexec_b64 s[14:15], s[0:1]
	s_cbranch_execz .LBB26_67
; %bb.66:                               ;   in Loop: Header=BB26_3 Depth=1
	v_mov_b64_e32 v[6:7], s[10:11]
	global_store_dwordx4 v[38:39], v[6:9], off offset:8
.LBB26_67:                              ;   in Loop: Header=BB26_3 Depth=1
	s_or_b64 exec, exec, s[14:15]
	v_cmp_gt_u64_e32 vcc, 57, v[4:5]
	s_lshl_b64 s[10:11], s[12:13], 12
	v_and_b32_e32 v10, 0xffffff1f, v10
	v_cndmask_b32_e32 v0, 0, v2, vcc
	v_lshl_add_u64 v[6:7], v[28:29], 0, s[10:11]
	v_lshl_add_u32 v28, v36, 2, 28
	v_or_b32_e32 v0, v10, v0
	v_and_or_b32 v10, v28, s17, v0
	v_lshlrev_b32_e32 v30, 6, v32
	v_readfirstlane_b32 s10, v6
	v_readfirstlane_b32 s11, v7
	s_nop 4
	global_store_dwordx4 v30, v[10:13], s[10:11]
	global_store_dwordx4 v30, v[14:17], s[10:11] offset:16
	global_store_dwordx4 v30, v[18:21], s[10:11] offset:32
	;; [unrolled: 1-line block ×3, first 2 shown]
	s_and_saveexec_b64 s[10:11], s[0:1]
	s_cbranch_execz .LBB26_75
; %bb.68:                               ;   in Loop: Header=BB26_3 Depth=1
	global_load_dwordx2 v[18:19], v31, s[4:5] offset:32 sc0 sc1
	global_load_dwordx2 v[10:11], v31, s[4:5] offset:40
	v_mov_b32_e32 v16, s6
	v_mov_b32_e32 v17, s7
	s_waitcnt vmcnt(0)
	v_readfirstlane_b32 s12, v10
	v_readfirstlane_b32 s13, v11
	s_and_b64 s[12:13], s[12:13], s[6:7]
	s_mul_i32 s13, s13, 24
	s_mul_hi_u32 s14, s12, 24
	s_mul_i32 s12, s12, 24
	s_add_i32 s13, s14, s13
	v_lshl_add_u64 v[14:15], v[26:27], 0, s[12:13]
	global_store_dwordx2 v[14:15], v[18:19], off
	buffer_wbl2 sc0 sc1
	s_waitcnt vmcnt(0)
	global_atomic_cmpswap_x2 v[12:13], v31, v[16:19], s[4:5] offset:32 sc0 sc1
	s_waitcnt vmcnt(0)
	v_cmp_ne_u64_e32 vcc, v[12:13], v[18:19]
	s_and_saveexec_b64 s[12:13], vcc
	s_cbranch_execz .LBB26_71
; %bb.69:                               ;   in Loop: Header=BB26_3 Depth=1
	s_mov_b64 s[14:15], 0
.LBB26_70:                              ;   Parent Loop BB26_3 Depth=1
                                        ; =>  This Inner Loop Header: Depth=2
	s_sleep 1
	global_store_dwordx2 v[14:15], v[12:13], off
	v_mov_b32_e32 v10, s6
	v_mov_b32_e32 v11, s7
	buffer_wbl2 sc0 sc1
	s_waitcnt vmcnt(0)
	global_atomic_cmpswap_x2 v[10:11], v31, v[10:13], s[4:5] offset:32 sc0 sc1
	s_waitcnt vmcnt(0)
	v_cmp_eq_u64_e32 vcc, v[10:11], v[12:13]
	s_or_b64 s[14:15], vcc, s[14:15]
	v_mov_b64_e32 v[12:13], v[10:11]
	s_andn2_b64 exec, exec, s[14:15]
	s_cbranch_execnz .LBB26_70
.LBB26_71:                              ;   in Loop: Header=BB26_3 Depth=1
	s_or_b64 exec, exec, s[12:13]
	global_load_dwordx2 v[10:11], v31, s[4:5] offset:16
	s_mov_b64 s[14:15], exec
	v_mbcnt_lo_u32_b32 v0, s14, 0
	v_mbcnt_hi_u32_b32 v0, s15, v0
	v_cmp_eq_u32_e32 vcc, 0, v0
	s_and_saveexec_b64 s[12:13], vcc
	s_cbranch_execz .LBB26_73
; %bb.72:                               ;   in Loop: Header=BB26_3 Depth=1
	s_bcnt1_i32_b64 s14, s[14:15]
	v_mov_b32_e32 v12, s14
	v_mov_b32_e32 v13, v31
	buffer_wbl2 sc0 sc1
	s_waitcnt vmcnt(0)
	global_atomic_add_x2 v[10:11], v[12:13], off offset:8 sc1
.LBB26_73:                              ;   in Loop: Header=BB26_3 Depth=1
	s_or_b64 exec, exec, s[12:13]
	s_waitcnt vmcnt(0)
	global_load_dwordx2 v[12:13], v[10:11], off offset:16
	s_waitcnt vmcnt(0)
	v_cmp_eq_u64_e32 vcc, 0, v[12:13]
	s_cbranch_vccnz .LBB26_75
; %bb.74:                               ;   in Loop: Header=BB26_3 Depth=1
	global_load_dword v10, v[10:11], off offset:24
	v_mov_b32_e32 v11, v31
	s_waitcnt vmcnt(0)
	v_readfirstlane_b32 s12, v10
	s_and_b32 m0, s12, 0xffffff
	buffer_wbl2 sc0 sc1
	global_store_dwordx2 v[12:13], v[10:11], off sc0 sc1
	s_sendmsg sendmsg(MSG_INTERRUPT)
.LBB26_75:                              ;   in Loop: Header=BB26_3 Depth=1
	s_or_b64 exec, exec, s[10:11]
	v_lshl_add_u64 v[6:7], v[6:7], 0, v[30:31]
	s_branch .LBB26_79
.LBB26_76:                              ;   in Loop: Header=BB26_79 Depth=2
	s_or_b64 exec, exec, s[10:11]
	v_readfirstlane_b32 s10, v0
	s_cmp_eq_u32 s10, 0
	s_cbranch_scc1 .LBB26_78
; %bb.77:                               ;   in Loop: Header=BB26_79 Depth=2
	s_sleep 1
	s_cbranch_execnz .LBB26_79
	s_branch .LBB26_81
.LBB26_78:                              ;   in Loop: Header=BB26_3 Depth=1
	s_branch .LBB26_81
.LBB26_79:                              ;   Parent Loop BB26_3 Depth=1
                                        ; =>  This Inner Loop Header: Depth=2
	v_mov_b32_e32 v0, 1
	s_and_saveexec_b64 s[10:11], s[0:1]
	s_cbranch_execz .LBB26_76
; %bb.80:                               ;   in Loop: Header=BB26_79 Depth=2
	global_load_dword v0, v[38:39], off offset:20 sc0 sc1
	s_waitcnt vmcnt(0)
	buffer_inv sc0 sc1
	v_and_b32_e32 v0, 1, v0
	s_branch .LBB26_76
.LBB26_81:                              ;   in Loop: Header=BB26_3 Depth=1
	global_load_dwordx4 v[10:13], v[6:7], off
	s_and_saveexec_b64 s[10:11], s[0:1]
	s_cbranch_execz .LBB26_2
; %bb.82:                               ;   in Loop: Header=BB26_3 Depth=1
	global_load_dwordx2 v[6:7], v31, s[4:5] offset:40
	global_load_dwordx2 v[16:17], v31, s[4:5] offset:24 sc0 sc1
	global_load_dwordx2 v[12:13], v31, s[4:5]
	s_waitcnt vmcnt(2)
	v_readfirstlane_b32 s12, v6
	v_readfirstlane_b32 s13, v7
	s_add_u32 s14, s12, 1
	s_addc_u32 s15, s13, 0
	s_add_u32 s0, s14, s6
	s_addc_u32 s1, s15, s7
	s_cmp_eq_u64 s[0:1], 0
	s_cselect_b32 s1, s15, s1
	s_cselect_b32 s0, s14, s0
	s_and_b64 s[6:7], s[0:1], s[12:13]
	s_mul_i32 s7, s7, 24
	s_mul_hi_u32 s12, s6, 24
	s_mul_i32 s6, s6, 24
	s_add_i32 s7, s12, s7
	s_waitcnt vmcnt(0)
	v_lshl_add_u64 v[6:7], v[12:13], 0, s[6:7]
	v_mov_b32_e32 v14, s0
	global_store_dwordx2 v[6:7], v[16:17], off
	v_mov_b32_e32 v15, s1
	buffer_wbl2 sc0 sc1
	s_waitcnt vmcnt(0)
	global_atomic_cmpswap_x2 v[14:15], v31, v[14:17], s[4:5] offset:24 sc0 sc1
	s_waitcnt vmcnt(0)
	v_cmp_ne_u64_e32 vcc, v[14:15], v[16:17]
	s_and_b64 exec, exec, vcc
	s_cbranch_execz .LBB26_2
; %bb.83:                               ;   in Loop: Header=BB26_3 Depth=1
	s_mov_b64 s[6:7], 0
.LBB26_84:                              ;   Parent Loop BB26_3 Depth=1
                                        ; =>  This Inner Loop Header: Depth=2
	s_sleep 1
	global_store_dwordx2 v[6:7], v[14:15], off
	v_mov_b32_e32 v12, s0
	v_mov_b32_e32 v13, s1
	buffer_wbl2 sc0 sc1
	s_waitcnt vmcnt(0)
	global_atomic_cmpswap_x2 v[12:13], v31, v[12:15], s[4:5] offset:24 sc0 sc1
	s_waitcnt vmcnt(0)
	v_cmp_eq_u64_e32 vcc, v[12:13], v[14:15]
	s_or_b64 s[6:7], vcc, s[6:7]
	v_mov_b64_e32 v[14:15], v[12:13]
	s_andn2_b64 exec, exec, s[6:7]
	s_cbranch_execnz .LBB26_84
	s_branch .LBB26_2
.LBB26_85:
	s_or_b64 exec, exec, s[2:3]
	s_branch .LBB26_113
.LBB26_86:
	s_load_dwordx2 s[2:3], s[8:9], 0x50
	s_waitcnt vmcnt(0)
	v_mbcnt_hi_u32_b32 v10, -1, v33
	v_mov_b64_e32 v[8:9], 0
	v_readfirstlane_b32 s0, v10
	s_nop 1
	v_cmp_eq_u32_e64 s[0:1], s0, v10
	s_and_saveexec_b64 s[4:5], s[0:1]
	s_cbranch_execz .LBB26_92
; %bb.87:
	v_mov_b32_e32 v0, 0
	s_waitcnt lgkmcnt(0)
	global_load_dwordx2 v[6:7], v0, s[2:3] offset:24 sc0 sc1
	s_waitcnt vmcnt(0)
	buffer_inv sc0 sc1
	global_load_dwordx2 v[4:5], v0, s[2:3] offset:40
	global_load_dwordx2 v[8:9], v0, s[2:3]
	s_waitcnt vmcnt(1)
	v_and_b32_e32 v2, v4, v6
	v_and_b32_e32 v4, v5, v7
	v_mul_lo_u32 v4, v4, 24
	v_mul_hi_u32 v5, v2, 24
	v_add_u32_e32 v5, v5, v4
	v_mul_lo_u32 v4, v2, 24
	s_waitcnt vmcnt(0)
	v_lshl_add_u64 v[4:5], v[8:9], 0, v[4:5]
	global_load_dwordx2 v[4:5], v[4:5], off sc0 sc1
	s_waitcnt vmcnt(0)
	global_atomic_cmpswap_x2 v[8:9], v0, v[4:7], s[2:3] offset:24 sc0 sc1
	s_waitcnt vmcnt(0)
	buffer_inv sc0 sc1
	v_cmp_ne_u64_e32 vcc, v[8:9], v[6:7]
	s_and_saveexec_b64 s[6:7], vcc
	s_cbranch_execz .LBB26_91
; %bb.88:
	s_mov_b64 s[8:9], 0
.LBB26_89:                              ; =>This Inner Loop Header: Depth=1
	s_sleep 1
	global_load_dwordx2 v[4:5], v0, s[2:3] offset:40
	global_load_dwordx2 v[12:13], v0, s[2:3]
	v_mov_b64_e32 v[6:7], v[8:9]
	s_waitcnt vmcnt(1)
	v_and_b32_e32 v2, v4, v6
	v_and_b32_e32 v8, v5, v7
	s_waitcnt vmcnt(0)
	v_mad_u64_u32 v[4:5], s[10:11], v2, 24, v[12:13]
	v_mov_b32_e32 v2, v5
	v_mad_u64_u32 v[8:9], s[10:11], v8, 24, v[2:3]
	v_mov_b32_e32 v5, v8
	global_load_dwordx2 v[4:5], v[4:5], off sc0 sc1
	s_waitcnt vmcnt(0)
	global_atomic_cmpswap_x2 v[8:9], v0, v[4:7], s[2:3] offset:24 sc0 sc1
	s_waitcnt vmcnt(0)
	buffer_inv sc0 sc1
	v_cmp_eq_u64_e32 vcc, v[8:9], v[6:7]
	s_or_b64 s[8:9], vcc, s[8:9]
	s_andn2_b64 exec, exec, s[8:9]
	s_cbranch_execnz .LBB26_89
; %bb.90:
	s_or_b64 exec, exec, s[8:9]
.LBB26_91:
	s_or_b64 exec, exec, s[6:7]
.LBB26_92:
	s_or_b64 exec, exec, s[4:5]
	v_mov_b32_e32 v2, 0
	s_waitcnt lgkmcnt(0)
	global_load_dwordx2 v[12:13], v2, s[2:3] offset:40
	global_load_dwordx4 v[4:7], v2, s[2:3]
	v_readfirstlane_b32 s5, v9
	v_readfirstlane_b32 s4, v8
	s_mov_b64 s[6:7], exec
	s_waitcnt vmcnt(1)
	v_readfirstlane_b32 s8, v12
	v_readfirstlane_b32 s9, v13
	s_and_b64 s[8:9], s[8:9], s[4:5]
	s_mul_i32 s10, s9, 24
	s_mul_hi_u32 s11, s8, 24
	s_add_i32 s11, s11, s10
	s_mul_i32 s10, s8, 24
	s_waitcnt vmcnt(0)
	v_lshl_add_u64 v[8:9], v[4:5], 0, s[10:11]
	s_and_saveexec_b64 s[10:11], s[0:1]
	s_cbranch_execz .LBB26_94
; %bb.93:
	v_mov_b64_e32 v[12:13], s[6:7]
	v_mov_b32_e32 v14, 2
	v_mov_b32_e32 v15, 1
	global_store_dwordx4 v[8:9], v[12:15], off offset:8
.LBB26_94:
	s_or_b64 exec, exec, s[10:11]
	s_lshl_b64 s[6:7], s[8:9], 12
	v_lshl_add_u64 v[6:7], v[6:7], 0, s[6:7]
	s_movk_i32 s6, 0xff1f
	s_mov_b32 s8, 0
	v_and_or_b32 v0, v3, s6, 32
	v_lshlrev_b32_e32 v10, 6, v10
	v_mov_b32_e32 v3, v2
	v_readfirstlane_b32 s6, v6
	v_readfirstlane_b32 s7, v7
	s_mov_b32 s9, s8
	s_mov_b32 s10, s8
	;; [unrolled: 1-line block ×3, first 2 shown]
	s_nop 1
	global_store_dwordx4 v10, v[0:3], s[6:7]
	s_nop 1
	v_mov_b64_e32 v[0:1], s[8:9]
	v_mov_b64_e32 v[2:3], s[10:11]
	global_store_dwordx4 v10, v[0:3], s[6:7] offset:16
	global_store_dwordx4 v10, v[0:3], s[6:7] offset:32
	;; [unrolled: 1-line block ×3, first 2 shown]
	s_and_saveexec_b64 s[6:7], s[0:1]
	s_cbranch_execz .LBB26_102
; %bb.95:
	v_mov_b32_e32 v6, 0
	global_load_dwordx2 v[12:13], v6, s[2:3] offset:32 sc0 sc1
	global_load_dwordx2 v[0:1], v6, s[2:3] offset:40
	v_mov_b32_e32 v10, s4
	v_mov_b32_e32 v11, s5
	s_waitcnt vmcnt(0)
	v_and_b32_e32 v0, s4, v0
	v_and_b32_e32 v1, s5, v1
	v_mul_lo_u32 v1, v1, 24
	v_mul_hi_u32 v2, v0, 24
	v_mul_lo_u32 v0, v0, 24
	v_add_u32_e32 v1, v2, v1
	v_lshl_add_u64 v[4:5], v[4:5], 0, v[0:1]
	global_store_dwordx2 v[4:5], v[12:13], off
	buffer_wbl2 sc0 sc1
	s_waitcnt vmcnt(0)
	global_atomic_cmpswap_x2 v[2:3], v6, v[10:13], s[2:3] offset:32 sc0 sc1
	s_waitcnt vmcnt(0)
	v_cmp_ne_u64_e32 vcc, v[2:3], v[12:13]
	s_and_saveexec_b64 s[8:9], vcc
	s_cbranch_execz .LBB26_98
; %bb.96:
	s_mov_b64 s[10:11], 0
.LBB26_97:                              ; =>This Inner Loop Header: Depth=1
	s_sleep 1
	global_store_dwordx2 v[4:5], v[2:3], off
	v_mov_b32_e32 v0, s4
	v_mov_b32_e32 v1, s5
	buffer_wbl2 sc0 sc1
	s_waitcnt vmcnt(0)
	global_atomic_cmpswap_x2 v[0:1], v6, v[0:3], s[2:3] offset:32 sc0 sc1
	s_waitcnt vmcnt(0)
	v_cmp_eq_u64_e32 vcc, v[0:1], v[2:3]
	s_or_b64 s[10:11], vcc, s[10:11]
	v_mov_b64_e32 v[2:3], v[0:1]
	s_andn2_b64 exec, exec, s[10:11]
	s_cbranch_execnz .LBB26_97
.LBB26_98:
	s_or_b64 exec, exec, s[8:9]
	v_mov_b32_e32 v3, 0
	global_load_dwordx2 v[0:1], v3, s[2:3] offset:16
	s_mov_b64 s[8:9], exec
	v_mbcnt_lo_u32_b32 v2, s8, 0
	v_mbcnt_hi_u32_b32 v2, s9, v2
	v_cmp_eq_u32_e32 vcc, 0, v2
	s_and_saveexec_b64 s[10:11], vcc
	s_cbranch_execz .LBB26_100
; %bb.99:
	s_bcnt1_i32_b64 s8, s[8:9]
	v_mov_b32_e32 v2, s8
	buffer_wbl2 sc0 sc1
	s_waitcnt vmcnt(0)
	global_atomic_add_x2 v[0:1], v[2:3], off offset:8 sc1
.LBB26_100:
	s_or_b64 exec, exec, s[10:11]
	s_waitcnt vmcnt(0)
	global_load_dwordx2 v[2:3], v[0:1], off offset:16
	s_waitcnt vmcnt(0)
	v_cmp_eq_u64_e32 vcc, 0, v[2:3]
	s_cbranch_vccnz .LBB26_102
; %bb.101:
	global_load_dword v0, v[0:1], off offset:24
	v_mov_b32_e32 v1, 0
	s_waitcnt vmcnt(0)
	v_readfirstlane_b32 s8, v0
	s_and_b32 m0, s8, 0xffffff
	buffer_wbl2 sc0 sc1
	global_store_dwordx2 v[2:3], v[0:1], off sc0 sc1
	s_sendmsg sendmsg(MSG_INTERRUPT)
.LBB26_102:
	s_or_b64 exec, exec, s[6:7]
	s_branch .LBB26_106
.LBB26_103:                             ;   in Loop: Header=BB26_106 Depth=1
	s_or_b64 exec, exec, s[6:7]
	v_readfirstlane_b32 s6, v0
	s_cmp_eq_u32 s6, 0
	s_cbranch_scc1 .LBB26_105
; %bb.104:                              ;   in Loop: Header=BB26_106 Depth=1
	s_sleep 1
	s_cbranch_execnz .LBB26_106
	s_branch .LBB26_108
.LBB26_105:
	s_branch .LBB26_108
.LBB26_106:                             ; =>This Inner Loop Header: Depth=1
	v_mov_b32_e32 v0, 1
	s_and_saveexec_b64 s[6:7], s[0:1]
	s_cbranch_execz .LBB26_103
; %bb.107:                              ;   in Loop: Header=BB26_106 Depth=1
	global_load_dword v0, v[8:9], off offset:20 sc0 sc1
	s_waitcnt vmcnt(0)
	buffer_inv sc0 sc1
	v_and_b32_e32 v0, 1, v0
	s_branch .LBB26_103
.LBB26_108:
	s_and_saveexec_b64 s[6:7], s[0:1]
	s_cbranch_execz .LBB26_111
; %bb.109:
	v_mov_b32_e32 v6, 0
	global_load_dwordx2 v[0:1], v6, s[2:3] offset:40
	global_load_dwordx2 v[10:11], v6, s[2:3] offset:24 sc0 sc1
	global_load_dwordx2 v[2:3], v6, s[2:3]
	s_waitcnt vmcnt(2)
	v_readfirstlane_b32 s8, v0
	v_readfirstlane_b32 s9, v1
	s_add_u32 s10, s8, 1
	s_addc_u32 s11, s9, 0
	s_add_u32 s0, s10, s4
	s_addc_u32 s1, s11, s5
	s_cmp_eq_u64 s[0:1], 0
	s_cselect_b32 s1, s11, s1
	s_cselect_b32 s0, s10, s0
	s_and_b64 s[4:5], s[0:1], s[8:9]
	s_mul_i32 s5, s5, 24
	s_mul_hi_u32 s8, s4, 24
	s_mul_i32 s4, s4, 24
	s_add_i32 s5, s8, s5
	s_waitcnt vmcnt(0)
	v_lshl_add_u64 v[4:5], v[2:3], 0, s[4:5]
	v_mov_b32_e32 v8, s0
	global_store_dwordx2 v[4:5], v[10:11], off
	v_mov_b32_e32 v9, s1
	buffer_wbl2 sc0 sc1
	s_waitcnt vmcnt(0)
	global_atomic_cmpswap_x2 v[2:3], v6, v[8:11], s[2:3] offset:24 sc0 sc1
	s_mov_b64 s[4:5], 0
	s_waitcnt vmcnt(0)
	v_cmp_ne_u64_e32 vcc, v[2:3], v[10:11]
	s_and_b64 exec, exec, vcc
	s_cbranch_execz .LBB26_111
.LBB26_110:                             ; =>This Inner Loop Header: Depth=1
	s_sleep 1
	global_store_dwordx2 v[4:5], v[2:3], off
	v_mov_b32_e32 v0, s0
	v_mov_b32_e32 v1, s1
	buffer_wbl2 sc0 sc1
	s_waitcnt vmcnt(0)
	global_atomic_cmpswap_x2 v[0:1], v6, v[0:3], s[2:3] offset:24 sc0 sc1
	s_waitcnt vmcnt(0)
	v_cmp_eq_u64_e32 vcc, v[0:1], v[2:3]
	s_or_b64 s[4:5], vcc, s[4:5]
	v_mov_b64_e32 v[2:3], v[0:1]
	s_andn2_b64 exec, exec, s[4:5]
	s_cbranch_execnz .LBB26_110
.LBB26_111:
	s_or_b64 exec, exec, s[6:7]
	s_waitcnt vmcnt(0) lgkmcnt(0)
	s_setpc_b64 s[30:31]
.LBB26_112:
	s_cbranch_execnz .LBB26_86
.LBB26_113:
	s_waitcnt vmcnt(0) lgkmcnt(0)
	s_setpc_b64 s[30:31]
.Lfunc_end26:
	.size	__ockl_fprintf_append_string_n, .Lfunc_end26-__ockl_fprintf_append_string_n
                                        ; -- End function
	.set .L__ockl_fprintf_append_string_n.num_vgpr, 40
	.set .L__ockl_fprintf_append_string_n.num_agpr, 0
	.set .L__ockl_fprintf_append_string_n.numbered_sgpr, 32
	.set .L__ockl_fprintf_append_string_n.num_named_barrier, 0
	.set .L__ockl_fprintf_append_string_n.private_seg_size, 0
	.set .L__ockl_fprintf_append_string_n.uses_vcc, 1
	.set .L__ockl_fprintf_append_string_n.uses_flat_scratch, 0
	.set .L__ockl_fprintf_append_string_n.has_dyn_sized_stack, 0
	.set .L__ockl_fprintf_append_string_n.has_recursion, 0
	.set .L__ockl_fprintf_append_string_n.has_indirect_call, 0
	.section	.AMDGPU.csdata,"",@progbits
; Function info:
; codeLenInByte = 3788
; TotalNumSgprs: 38
; NumVgprs: 40
; NumAgprs: 0
; TotalNumVgprs: 40
; ScratchSize: 0
; MemoryBound: 0
	.text
	.p2align	2                               ; -- Begin function __assert_fail
	.type	__assert_fail,@function
__assert_fail:                          ; @__assert_fail
; %bb.0:
	s_waitcnt vmcnt(0) expcnt(0) lgkmcnt(0)
	s_mov_b32 s20, s33
	s_mov_b32 s33, s32
	s_or_saveexec_b64 s[0:1], -1
	scratch_store_dword off, v40, s33 offset:48 ; 4-byte Folded Spill
	s_mov_b64 exec, s[0:1]
	v_writelane_b32 v40, s30, 0
	s_add_i32 s32, s32, 64
	s_nop 0
	v_writelane_b32 v40, s31, 1
	v_mov_b32_e32 v8, 0
	s_getpc_b64 s[0:1]
	s_add_u32 s0, s0, __const.__assert_fail.fmt@rel32@lo+35
	s_addc_u32 s1, s1, __const.__assert_fail.fmt@rel32@hi+43
	v_mov_b32_e32 v5, v1
	v_mov_b32_e32 v4, v0
	global_load_dwordx4 v[0:3], v8, s[0:1]
	s_getpc_b64 s[0:1]
	s_add_u32 s0, s0, __const.__assert_fail.fmt@rel32@lo+4
	s_addc_u32 s1, s1, __const.__assert_fail.fmt@rel32@hi+12
	s_getpc_b64 s[10:11]
	s_add_u32 s10, s10, __const.__assert_fail.fmt@rel32@lo+20
	s_addc_u32 s11, s11, __const.__assert_fail.fmt@rel32@hi+28
	s_load_dwordx4 s[4:7], s[0:1], 0x0
	s_load_dwordx4 s[12:15], s[10:11], 0x0
	s_load_dwordx2 s[2:3], s[8:9], 0x50
	v_mbcnt_lo_u32_b32 v6, -1, 0
	v_mbcnt_hi_u32_b32 v38, -1, v6
	s_waitcnt lgkmcnt(0)
	v_mov_b64_e32 v[12:13], s[6:7]
	v_readfirstlane_b32 s0, v38
	v_mov_b64_e32 v[10:11], s[4:5]
	v_mov_b64_e32 v[16:17], s[14:15]
	v_cmp_eq_u32_e64 s[0:1], s0, v38
	v_mov_b64_e32 v[6:7], 0
	v_mov_b64_e32 v[14:15], s[12:13]
	scratch_store_dwordx4 off, v[10:13], s33
	scratch_store_dwordx4 off, v[14:17], s33 offset:16
	s_waitcnt vmcnt(2)
	scratch_store_dwordx4 off, v[0:3], s33 offset:31
	s_and_saveexec_b64 s[4:5], s[0:1]
	s_cbranch_execz .LBB27_6
; %bb.1:
	global_load_dwordx2 v[2:3], v8, s[2:3] offset:24 sc0 sc1
	s_waitcnt vmcnt(0)
	buffer_inv sc0 sc1
	global_load_dwordx2 v[0:1], v8, s[2:3] offset:40
	global_load_dwordx2 v[6:7], v8, s[2:3]
	s_waitcnt vmcnt(1)
	v_and_b32_e32 v0, v0, v2
	v_and_b32_e32 v1, v1, v3
	v_mul_lo_u32 v1, v1, 24
	v_mul_hi_u32 v9, v0, 24
	v_add_u32_e32 v1, v9, v1
	v_mul_lo_u32 v0, v0, 24
	s_waitcnt vmcnt(0)
	v_lshl_add_u64 v[0:1], v[6:7], 0, v[0:1]
	global_load_dwordx2 v[0:1], v[0:1], off sc0 sc1
	s_waitcnt vmcnt(0)
	global_atomic_cmpswap_x2 v[6:7], v8, v[0:3], s[2:3] offset:24 sc0 sc1
	s_waitcnt vmcnt(0)
	buffer_inv sc0 sc1
	v_cmp_ne_u64_e32 vcc, v[6:7], v[2:3]
	s_and_saveexec_b64 s[6:7], vcc
	s_cbranch_execz .LBB27_5
; %bb.2:
	s_mov_b64 s[10:11], 0
	v_mov_b32_e32 v0, 0
.LBB27_3:                               ; =>This Inner Loop Header: Depth=1
	s_sleep 1
	global_load_dwordx2 v[2:3], v0, s[2:3] offset:40
	global_load_dwordx2 v[10:11], v0, s[2:3]
	v_mov_b64_e32 v[12:13], v[6:7]
	s_waitcnt vmcnt(1)
	v_and_b32_e32 v2, v2, v12
	v_and_b32_e32 v1, v3, v13
	s_waitcnt vmcnt(0)
	v_mad_u64_u32 v[2:3], s[12:13], v2, 24, v[10:11]
	v_mov_b32_e32 v6, v3
	v_mad_u64_u32 v[6:7], s[12:13], v1, 24, v[6:7]
	v_mov_b32_e32 v3, v6
	global_load_dwordx2 v[10:11], v[2:3], off sc0 sc1
	s_waitcnt vmcnt(0)
	global_atomic_cmpswap_x2 v[6:7], v0, v[10:13], s[2:3] offset:24 sc0 sc1
	s_waitcnt vmcnt(0)
	buffer_inv sc0 sc1
	v_cmp_eq_u64_e32 vcc, v[6:7], v[12:13]
	s_or_b64 s[10:11], vcc, s[10:11]
	s_andn2_b64 exec, exec, s[10:11]
	s_cbranch_execnz .LBB27_3
; %bb.4:
	s_or_b64 exec, exec, s[10:11]
.LBB27_5:
	s_or_b64 exec, exec, s[6:7]
.LBB27_6:
	s_or_b64 exec, exec, s[4:5]
	global_load_dwordx2 v[10:11], v8, s[2:3] offset:40
	global_load_dwordx4 v[0:3], v8, s[2:3]
	v_readfirstlane_b32 s5, v7
	v_readfirstlane_b32 s4, v6
	s_mov_b64 s[6:7], exec
	s_waitcnt vmcnt(1)
	v_readfirstlane_b32 s10, v10
	v_readfirstlane_b32 s11, v11
	s_and_b64 s[10:11], s[10:11], s[4:5]
	s_mul_i32 s12, s11, 24
	s_mul_hi_u32 s13, s10, 24
	s_add_i32 s13, s13, s12
	s_mul_i32 s12, s10, 24
	s_waitcnt vmcnt(0)
	v_lshl_add_u64 v[6:7], v[0:1], 0, s[12:13]
	s_and_saveexec_b64 s[12:13], s[0:1]
	s_cbranch_execz .LBB27_8
; %bb.7:
	v_mov_b64_e32 v[8:9], s[6:7]
	v_mov_b32_e32 v10, 2
	v_mov_b32_e32 v11, 1
	global_store_dwordx4 v[6:7], v[8:11], off offset:8
.LBB27_8:
	s_or_b64 exec, exec, s[12:13]
	s_lshl_b64 s[6:7], s[10:11], 12
	v_lshl_add_u64 v[8:9], v[2:3], 0, s[6:7]
	v_mov_b32_e32 v31, 0
	s_mov_b32 s12, 0
	v_lshlrev_b32_e32 v30, 6, v38
	v_mov_b32_e32 v10, 33
	v_mov_b32_e32 v12, 1
	;; [unrolled: 1-line block ×4, first 2 shown]
	v_readfirstlane_b32 s6, v8
	v_readfirstlane_b32 s7, v9
	s_mov_b32 s13, s12
	s_mov_b32 s14, s12
	;; [unrolled: 1-line block ×3, first 2 shown]
	s_nop 1
	global_store_dwordx4 v30, v[10:13], s[6:7]
	s_nop 1
	v_mov_b64_e32 v[10:11], s[12:13]
	v_mov_b64_e32 v[12:13], s[14:15]
	global_store_dwordx4 v30, v[10:13], s[6:7] offset:16
	global_store_dwordx4 v30, v[10:13], s[6:7] offset:32
	;; [unrolled: 1-line block ×3, first 2 shown]
	s_and_saveexec_b64 s[6:7], s[0:1]
	s_cbranch_execz .LBB27_16
; %bb.9:
	global_load_dwordx2 v[14:15], v31, s[2:3] offset:32 sc0 sc1
	global_load_dwordx2 v[2:3], v31, s[2:3] offset:40
	v_mov_b32_e32 v12, s4
	v_mov_b32_e32 v13, s5
	s_waitcnt vmcnt(0)
	v_and_b32_e32 v2, s4, v2
	v_and_b32_e32 v3, s5, v3
	v_mul_lo_u32 v3, v3, 24
	v_mul_hi_u32 v10, v2, 24
	v_mul_lo_u32 v2, v2, 24
	v_add_u32_e32 v3, v10, v3
	v_lshl_add_u64 v[10:11], v[0:1], 0, v[2:3]
	global_store_dwordx2 v[10:11], v[14:15], off
	buffer_wbl2 sc0 sc1
	s_waitcnt vmcnt(0)
	global_atomic_cmpswap_x2 v[2:3], v31, v[12:15], s[2:3] offset:32 sc0 sc1
	s_waitcnt vmcnt(0)
	v_cmp_ne_u64_e32 vcc, v[2:3], v[14:15]
	s_and_saveexec_b64 s[10:11], vcc
	s_cbranch_execz .LBB27_12
; %bb.10:
	s_mov_b64 s[12:13], 0
	v_mov_b32_e32 v12, 0
.LBB27_11:                              ; =>This Inner Loop Header: Depth=1
	s_sleep 1
	global_store_dwordx2 v[10:11], v[2:3], off
	v_mov_b32_e32 v0, s4
	v_mov_b32_e32 v1, s5
	buffer_wbl2 sc0 sc1
	s_waitcnt vmcnt(0)
	global_atomic_cmpswap_x2 v[0:1], v12, v[0:3], s[2:3] offset:32 sc0 sc1
	s_waitcnt vmcnt(0)
	v_cmp_eq_u64_e32 vcc, v[0:1], v[2:3]
	s_or_b64 s[12:13], vcc, s[12:13]
	v_mov_b64_e32 v[2:3], v[0:1]
	s_andn2_b64 exec, exec, s[12:13]
	s_cbranch_execnz .LBB27_11
.LBB27_12:
	s_or_b64 exec, exec, s[10:11]
	v_mov_b32_e32 v3, 0
	global_load_dwordx2 v[0:1], v3, s[2:3] offset:16
	s_mov_b64 s[10:11], exec
	v_mbcnt_lo_u32_b32 v2, s10, 0
	v_mbcnt_hi_u32_b32 v2, s11, v2
	v_cmp_eq_u32_e32 vcc, 0, v2
	s_and_saveexec_b64 s[12:13], vcc
	s_cbranch_execz .LBB27_14
; %bb.13:
	s_bcnt1_i32_b64 s10, s[10:11]
	v_mov_b32_e32 v2, s10
	buffer_wbl2 sc0 sc1
	s_waitcnt vmcnt(0)
	global_atomic_add_x2 v[0:1], v[2:3], off offset:8 sc1
.LBB27_14:
	s_or_b64 exec, exec, s[12:13]
	s_waitcnt vmcnt(0)
	global_load_dwordx2 v[2:3], v[0:1], off offset:16
	s_waitcnt vmcnt(0)
	v_cmp_eq_u64_e32 vcc, 0, v[2:3]
	s_cbranch_vccnz .LBB27_16
; %bb.15:
	global_load_dword v0, v[0:1], off offset:24
	v_mov_b32_e32 v1, 0
	s_waitcnt vmcnt(0)
	v_readfirstlane_b32 s10, v0
	s_and_b32 m0, s10, 0xffffff
	buffer_wbl2 sc0 sc1
	global_store_dwordx2 v[2:3], v[0:1], off sc0 sc1
	s_sendmsg sendmsg(MSG_INTERRUPT)
.LBB27_16:
	s_or_b64 exec, exec, s[6:7]
	v_lshl_add_u64 v[0:1], v[8:9], 0, v[30:31]
	s_branch .LBB27_20
.LBB27_17:                              ;   in Loop: Header=BB27_20 Depth=1
	s_or_b64 exec, exec, s[6:7]
	v_readfirstlane_b32 s6, v2
	s_cmp_eq_u32 s6, 0
	s_cbranch_scc1 .LBB27_19
; %bb.18:                               ;   in Loop: Header=BB27_20 Depth=1
	s_sleep 1
	s_cbranch_execnz .LBB27_20
	s_branch .LBB27_22
.LBB27_19:
	s_branch .LBB27_22
.LBB27_20:                              ; =>This Inner Loop Header: Depth=1
	v_mov_b32_e32 v2, 1
	s_and_saveexec_b64 s[6:7], s[0:1]
	s_cbranch_execz .LBB27_17
; %bb.21:                               ;   in Loop: Header=BB27_20 Depth=1
	global_load_dword v2, v[6:7], off offset:20 sc0 sc1
	s_waitcnt vmcnt(0)
	buffer_inv sc0 sc1
	v_and_b32_e32 v2, 1, v2
	s_branch .LBB27_17
.LBB27_22:
	global_load_dwordx2 v[6:7], v[0:1], off
	s_and_saveexec_b64 s[6:7], s[0:1]
	s_cbranch_execz .LBB27_25
; %bb.23:
	v_mov_b32_e32 v10, 0
	global_load_dwordx2 v[0:1], v10, s[2:3] offset:40
	global_load_dwordx2 v[14:15], v10, s[2:3] offset:24 sc0 sc1
	global_load_dwordx2 v[2:3], v10, s[2:3]
	s_waitcnt vmcnt(2)
	v_readfirstlane_b32 s10, v0
	v_readfirstlane_b32 s11, v1
	s_add_u32 s12, s10, 1
	s_addc_u32 s13, s11, 0
	s_add_u32 s0, s12, s4
	s_addc_u32 s1, s13, s5
	s_cmp_eq_u64 s[0:1], 0
	s_cselect_b32 s1, s13, s1
	s_cselect_b32 s0, s12, s0
	s_and_b64 s[4:5], s[0:1], s[10:11]
	s_mul_i32 s5, s5, 24
	s_mul_hi_u32 s10, s4, 24
	s_mul_i32 s4, s4, 24
	s_add_i32 s5, s10, s5
	s_waitcnt vmcnt(0)
	v_lshl_add_u64 v[8:9], v[2:3], 0, s[4:5]
	v_mov_b32_e32 v12, s0
	global_store_dwordx2 v[8:9], v[14:15], off
	v_mov_b32_e32 v13, s1
	buffer_wbl2 sc0 sc1
	s_waitcnt vmcnt(0)
	global_atomic_cmpswap_x2 v[2:3], v10, v[12:15], s[2:3] offset:24 sc0 sc1
	s_mov_b64 s[4:5], 0
	s_waitcnt vmcnt(0)
	v_cmp_ne_u64_e32 vcc, v[2:3], v[14:15]
	s_and_b64 exec, exec, vcc
	s_cbranch_execz .LBB27_25
.LBB27_24:                              ; =>This Inner Loop Header: Depth=1
	s_sleep 1
	global_store_dwordx2 v[8:9], v[2:3], off
	v_mov_b32_e32 v0, s0
	v_mov_b32_e32 v1, s1
	buffer_wbl2 sc0 sc1
	s_waitcnt vmcnt(0)
	global_atomic_cmpswap_x2 v[0:1], v10, v[0:3], s[2:3] offset:24 sc0 sc1
	s_waitcnt vmcnt(0)
	v_cmp_eq_u64_e32 vcc, v[0:1], v[2:3]
	s_or_b64 s[4:5], vcc, s[4:5]
	v_mov_b64_e32 v[2:3], v[0:1]
	s_andn2_b64 exec, exec, s[4:5]
	s_cbranch_execnz .LBB27_24
.LBB27_25:
	s_or_b64 exec, exec, s[6:7]
	s_mov_b32 s4, s33
	s_mov_b64 s[0:1], 0
.LBB27_26:                              ; =>This Inner Loop Header: Depth=1
	scratch_load_ubyte v1, off, s4
	s_add_i32 s4, s4, 1
	v_mov_b32_e32 v0, s4
	s_waitcnt vmcnt(0)
	v_cmp_eq_u16_e32 vcc, 0, v1
	s_or_b64 s[0:1], vcc, s[0:1]
	s_andn2_b64 exec, exec, s[0:1]
	s_cbranch_execnz .LBB27_26
; %bb.27:
	s_or_b64 exec, exec, s[0:1]
	s_cmp_lg_u32 s33, -1
	s_cbranch_scc0 .LBB27_112
; %bb.28:
	v_subrev_u32_e32 v28, s33, v0
	v_ashrrev_i32_e32 v29, 31, v28
	v_and_b32_e32 v32, 2, v6
	v_mov_b32_e32 v31, 0
	v_and_b32_e32 v0, -3, v6
	v_mov_b32_e32 v1, v7
	s_mov_b64 s[4:5], 0
	v_mov_b32_e32 v33, s33
	s_mov_b32 s16, 0
	s_movk_i32 s17, 0x1e0
	v_mov_b32_e32 v10, 2
	v_mov_b32_e32 v11, 1
	s_branch .LBB27_30
.LBB27_29:                              ;   in Loop: Header=BB27_30 Depth=1
	s_or_b64 exec, exec, s[10:11]
	v_sub_co_u32_e32 v28, vcc, v28, v34
	v_add_u32_e32 v33, v33, v34
	s_nop 0
	v_subb_co_u32_e32 v29, vcc, v29, v35, vcc
	v_cmp_eq_u64_e32 vcc, 0, v[28:29]
	s_or_b64 s[4:5], vcc, s[4:5]
	s_andn2_b64 exec, exec, s[4:5]
	s_cbranch_execz .LBB27_113
.LBB27_30:                              ; =>This Loop Header: Depth=1
                                        ;     Child Loop BB27_33 Depth 2
                                        ;     Child Loop BB27_41 Depth 2
	;; [unrolled: 1-line block ×11, first 2 shown]
	v_cmp_gt_u64_e32 vcc, 56, v[28:29]
	v_add_u32_e32 v9, 8, v33
	s_nop 0
	v_cndmask_b32_e32 v35, 0, v29, vcc
	v_cndmask_b32_e32 v34, 56, v28, vcc
	v_cmp_gt_u64_e32 vcc, 8, v[28:29]
	s_and_saveexec_b64 s[0:1], vcc
	s_xor_b64 s[0:1], exec, s[0:1]
	s_cbranch_execz .LBB27_36
; %bb.31:                               ;   in Loop: Header=BB27_30 Depth=1
	v_mov_b64_e32 v[2:3], 0
	v_cmp_ne_u64_e32 vcc, 0, v[28:29]
	s_and_saveexec_b64 s[6:7], vcc
	s_cbranch_execz .LBB27_35
; %bb.32:                               ;   in Loop: Header=BB27_30 Depth=1
	v_lshlrev_b64 v[8:9], 3, v[34:35]
	s_mov_b64 s[10:11], 0
	v_mov_b64_e32 v[2:3], 0
	s_mov_b64 s[12:13], 0
	v_mov_b32_e32 v9, v33
.LBB27_33:                              ;   Parent Loop BB27_30 Depth=1
                                        ; =>  This Inner Loop Header: Depth=2
	scratch_load_ubyte v12, v9, off
	v_mov_b32_e32 v13, s16
	v_add_u32_e32 v9, 1, v9
	s_waitcnt vmcnt(0)
	v_and_b32_e32 v12, 0xffff, v12
	v_lshlrev_b64 v[12:13], s12, v[12:13]
	s_add_u32 s12, s12, 8
	s_addc_u32 s13, s13, 0
	v_cmp_eq_u32_e32 vcc, s12, v8
	v_or_b32_e32 v3, v13, v3
	s_or_b64 s[10:11], vcc, s[10:11]
	v_or_b32_e32 v2, v12, v2
	s_andn2_b64 exec, exec, s[10:11]
	s_cbranch_execnz .LBB27_33
; %bb.34:                               ;   in Loop: Header=BB27_30 Depth=1
	s_or_b64 exec, exec, s[10:11]
.LBB27_35:                              ;   in Loop: Header=BB27_30 Depth=1
	s_or_b64 exec, exec, s[6:7]
	v_mov_b32_e32 v9, v33
.LBB27_36:                              ;   in Loop: Header=BB27_30 Depth=1
	s_or_saveexec_b64 s[0:1], s[0:1]
	v_mov_b32_e32 v14, 0
	s_xor_b64 exec, exec, s[0:1]
	s_cbranch_execz .LBB27_38
; %bb.37:                               ;   in Loop: Header=BB27_30 Depth=1
	scratch_load_dwordx2 v[2:3], v33, off
	v_add_u32_e32 v14, -8, v34
.LBB27_38:                              ;   in Loop: Header=BB27_30 Depth=1
	s_or_b64 exec, exec, s[0:1]
	v_cmp_gt_u32_e32 vcc, 8, v14
	v_add_u32_e32 v8, 8, v9
                                        ; implicit-def: $vgpr12_vgpr13
	s_and_saveexec_b64 s[0:1], vcc
	s_xor_b64 s[0:1], exec, s[0:1]
	s_cbranch_execz .LBB27_44
; %bb.39:                               ;   in Loop: Header=BB27_30 Depth=1
	v_cmp_ne_u32_e32 vcc, 0, v14
	v_mov_b64_e32 v[12:13], 0
	s_and_saveexec_b64 s[6:7], vcc
	s_cbranch_execz .LBB27_43
; %bb.40:                               ;   in Loop: Header=BB27_30 Depth=1
	s_mov_b32 s14, 0
	s_mov_b64 s[10:11], 0
	v_mov_b64_e32 v[12:13], 0
	s_mov_b64 s[12:13], 0
.LBB27_41:                              ;   Parent Loop BB27_30 Depth=1
                                        ; =>  This Inner Loop Header: Depth=2
	v_add_u32_e32 v8, s14, v9
	scratch_load_ubyte v8, v8, off
	v_mov_b32_e32 v17, s16
	s_add_i32 s14, s14, 1
	v_cmp_eq_u32_e32 vcc, s14, v14
	s_waitcnt vmcnt(0)
	v_and_b32_e32 v16, 0xffff, v8
	v_lshlrev_b64 v[16:17], s12, v[16:17]
	s_add_u32 s12, s12, 8
	s_addc_u32 s13, s13, 0
	v_or_b32_e32 v13, v17, v13
	s_or_b64 s[10:11], vcc, s[10:11]
	v_or_b32_e32 v12, v16, v12
	s_andn2_b64 exec, exec, s[10:11]
	s_cbranch_execnz .LBB27_41
; %bb.42:                               ;   in Loop: Header=BB27_30 Depth=1
	s_or_b64 exec, exec, s[10:11]
.LBB27_43:                              ;   in Loop: Header=BB27_30 Depth=1
	s_or_b64 exec, exec, s[6:7]
	v_mov_b32_e32 v8, v9
                                        ; implicit-def: $vgpr14
.LBB27_44:                              ;   in Loop: Header=BB27_30 Depth=1
	s_or_saveexec_b64 s[0:1], s[0:1]
	v_mov_b32_e32 v16, 0
	s_xor_b64 exec, exec, s[0:1]
	s_cbranch_execz .LBB27_46
; %bb.45:                               ;   in Loop: Header=BB27_30 Depth=1
	scratch_load_dwordx2 v[12:13], v9, off
	v_add_u32_e32 v16, -8, v14
.LBB27_46:                              ;   in Loop: Header=BB27_30 Depth=1
	s_or_b64 exec, exec, s[0:1]
	v_cmp_gt_u32_e32 vcc, 8, v16
	v_add_u32_e32 v9, 8, v8
	s_and_saveexec_b64 s[0:1], vcc
	s_xor_b64 s[0:1], exec, s[0:1]
	s_cbranch_execz .LBB27_52
; %bb.47:                               ;   in Loop: Header=BB27_30 Depth=1
	v_cmp_ne_u32_e32 vcc, 0, v16
	v_mov_b64_e32 v[14:15], 0
	s_and_saveexec_b64 s[6:7], vcc
	s_cbranch_execz .LBB27_51
; %bb.48:                               ;   in Loop: Header=BB27_30 Depth=1
	s_mov_b32 s14, 0
	s_mov_b64 s[10:11], 0
	v_mov_b64_e32 v[14:15], 0
	s_mov_b64 s[12:13], 0
.LBB27_49:                              ;   Parent Loop BB27_30 Depth=1
                                        ; =>  This Inner Loop Header: Depth=2
	v_add_u32_e32 v9, s14, v8
	scratch_load_ubyte v9, v9, off
	v_mov_b32_e32 v19, s16
	s_add_i32 s14, s14, 1
	v_cmp_eq_u32_e32 vcc, s14, v16
	s_waitcnt vmcnt(0)
	v_and_b32_e32 v18, 0xffff, v9
	v_lshlrev_b64 v[18:19], s12, v[18:19]
	s_add_u32 s12, s12, 8
	s_addc_u32 s13, s13, 0
	v_or_b32_e32 v15, v19, v15
	s_or_b64 s[10:11], vcc, s[10:11]
	v_or_b32_e32 v14, v18, v14
	s_andn2_b64 exec, exec, s[10:11]
	s_cbranch_execnz .LBB27_49
; %bb.50:                               ;   in Loop: Header=BB27_30 Depth=1
	s_or_b64 exec, exec, s[10:11]
.LBB27_51:                              ;   in Loop: Header=BB27_30 Depth=1
	s_or_b64 exec, exec, s[6:7]
	v_mov_b32_e32 v9, v8
                                        ; implicit-def: $vgpr16
.LBB27_52:                              ;   in Loop: Header=BB27_30 Depth=1
	s_or_saveexec_b64 s[0:1], s[0:1]
	v_mov_b32_e32 v18, 0
	s_xor_b64 exec, exec, s[0:1]
	s_cbranch_execz .LBB27_54
; %bb.53:                               ;   in Loop: Header=BB27_30 Depth=1
	scratch_load_dwordx2 v[14:15], v8, off
	v_add_u32_e32 v18, -8, v16
.LBB27_54:                              ;   in Loop: Header=BB27_30 Depth=1
	s_or_b64 exec, exec, s[0:1]
	v_cmp_gt_u32_e32 vcc, 8, v18
	v_add_u32_e32 v8, 8, v9
                                        ; implicit-def: $vgpr16_vgpr17
	s_and_saveexec_b64 s[0:1], vcc
	s_xor_b64 s[0:1], exec, s[0:1]
	s_cbranch_execz .LBB27_60
; %bb.55:                               ;   in Loop: Header=BB27_30 Depth=1
	v_cmp_ne_u32_e32 vcc, 0, v18
	v_mov_b64_e32 v[16:17], 0
	s_and_saveexec_b64 s[6:7], vcc
	s_cbranch_execz .LBB27_59
; %bb.56:                               ;   in Loop: Header=BB27_30 Depth=1
	s_mov_b32 s14, 0
	s_mov_b64 s[10:11], 0
	v_mov_b64_e32 v[16:17], 0
	s_mov_b64 s[12:13], 0
.LBB27_57:                              ;   Parent Loop BB27_30 Depth=1
                                        ; =>  This Inner Loop Header: Depth=2
	v_add_u32_e32 v8, s14, v9
	scratch_load_ubyte v8, v8, off
	v_mov_b32_e32 v21, s16
	s_add_i32 s14, s14, 1
	v_cmp_eq_u32_e32 vcc, s14, v18
	s_waitcnt vmcnt(0)
	v_and_b32_e32 v20, 0xffff, v8
	v_lshlrev_b64 v[20:21], s12, v[20:21]
	s_add_u32 s12, s12, 8
	s_addc_u32 s13, s13, 0
	v_or_b32_e32 v17, v21, v17
	s_or_b64 s[10:11], vcc, s[10:11]
	v_or_b32_e32 v16, v20, v16
	s_andn2_b64 exec, exec, s[10:11]
	s_cbranch_execnz .LBB27_57
; %bb.58:                               ;   in Loop: Header=BB27_30 Depth=1
	s_or_b64 exec, exec, s[10:11]
.LBB27_59:                              ;   in Loop: Header=BB27_30 Depth=1
	s_or_b64 exec, exec, s[6:7]
	v_mov_b32_e32 v8, v9
                                        ; implicit-def: $vgpr18
.LBB27_60:                              ;   in Loop: Header=BB27_30 Depth=1
	s_or_saveexec_b64 s[0:1], s[0:1]
	v_mov_b32_e32 v20, 0
	s_xor_b64 exec, exec, s[0:1]
	s_cbranch_execz .LBB27_62
; %bb.61:                               ;   in Loop: Header=BB27_30 Depth=1
	scratch_load_dwordx2 v[16:17], v9, off
	v_add_u32_e32 v20, -8, v18
.LBB27_62:                              ;   in Loop: Header=BB27_30 Depth=1
	s_or_b64 exec, exec, s[0:1]
	v_cmp_gt_u32_e32 vcc, 8, v20
	v_add_u32_e32 v9, 8, v8
	s_and_saveexec_b64 s[0:1], vcc
	s_xor_b64 s[0:1], exec, s[0:1]
	s_cbranch_execz .LBB27_68
; %bb.63:                               ;   in Loop: Header=BB27_30 Depth=1
	v_cmp_ne_u32_e32 vcc, 0, v20
	v_mov_b64_e32 v[18:19], 0
	s_and_saveexec_b64 s[6:7], vcc
	s_cbranch_execz .LBB27_67
; %bb.64:                               ;   in Loop: Header=BB27_30 Depth=1
	s_mov_b32 s14, 0
	s_mov_b64 s[10:11], 0
	v_mov_b64_e32 v[18:19], 0
	s_mov_b64 s[12:13], 0
.LBB27_65:                              ;   Parent Loop BB27_30 Depth=1
                                        ; =>  This Inner Loop Header: Depth=2
	v_add_u32_e32 v9, s14, v8
	scratch_load_ubyte v9, v9, off
	v_mov_b32_e32 v23, s16
	s_add_i32 s14, s14, 1
	v_cmp_eq_u32_e32 vcc, s14, v20
	s_waitcnt vmcnt(0)
	v_and_b32_e32 v22, 0xffff, v9
	v_lshlrev_b64 v[22:23], s12, v[22:23]
	s_add_u32 s12, s12, 8
	s_addc_u32 s13, s13, 0
	v_or_b32_e32 v19, v23, v19
	s_or_b64 s[10:11], vcc, s[10:11]
	v_or_b32_e32 v18, v22, v18
	s_andn2_b64 exec, exec, s[10:11]
	s_cbranch_execnz .LBB27_65
; %bb.66:                               ;   in Loop: Header=BB27_30 Depth=1
	s_or_b64 exec, exec, s[10:11]
.LBB27_67:                              ;   in Loop: Header=BB27_30 Depth=1
	s_or_b64 exec, exec, s[6:7]
	v_mov_b32_e32 v9, v8
                                        ; implicit-def: $vgpr20
.LBB27_68:                              ;   in Loop: Header=BB27_30 Depth=1
	s_or_saveexec_b64 s[0:1], s[0:1]
	v_mov_b32_e32 v22, 0
	s_xor_b64 exec, exec, s[0:1]
	s_cbranch_execz .LBB27_70
; %bb.69:                               ;   in Loop: Header=BB27_30 Depth=1
	scratch_load_dwordx2 v[18:19], v8, off
	v_add_u32_e32 v22, -8, v20
.LBB27_70:                              ;   in Loop: Header=BB27_30 Depth=1
	s_or_b64 exec, exec, s[0:1]
	v_cmp_gt_u32_e32 vcc, 8, v22
	v_add_u32_e32 v8, 8, v9
                                        ; implicit-def: $vgpr20_vgpr21
	s_and_saveexec_b64 s[0:1], vcc
	s_xor_b64 s[0:1], exec, s[0:1]
	s_cbranch_execz .LBB27_76
; %bb.71:                               ;   in Loop: Header=BB27_30 Depth=1
	v_cmp_ne_u32_e32 vcc, 0, v22
	v_mov_b64_e32 v[20:21], 0
	s_and_saveexec_b64 s[6:7], vcc
	s_cbranch_execz .LBB27_75
; %bb.72:                               ;   in Loop: Header=BB27_30 Depth=1
	s_mov_b32 s14, 0
	s_mov_b64 s[10:11], 0
	v_mov_b64_e32 v[20:21], 0
	s_mov_b64 s[12:13], 0
.LBB27_73:                              ;   Parent Loop BB27_30 Depth=1
                                        ; =>  This Inner Loop Header: Depth=2
	v_add_u32_e32 v8, s14, v9
	scratch_load_ubyte v8, v8, off
	v_mov_b32_e32 v25, s16
	s_add_i32 s14, s14, 1
	v_cmp_eq_u32_e32 vcc, s14, v22
	s_waitcnt vmcnt(0)
	v_and_b32_e32 v24, 0xffff, v8
	v_lshlrev_b64 v[24:25], s12, v[24:25]
	s_add_u32 s12, s12, 8
	s_addc_u32 s13, s13, 0
	v_or_b32_e32 v21, v25, v21
	s_or_b64 s[10:11], vcc, s[10:11]
	v_or_b32_e32 v20, v24, v20
	s_andn2_b64 exec, exec, s[10:11]
	s_cbranch_execnz .LBB27_73
; %bb.74:                               ;   in Loop: Header=BB27_30 Depth=1
	s_or_b64 exec, exec, s[10:11]
.LBB27_75:                              ;   in Loop: Header=BB27_30 Depth=1
	s_or_b64 exec, exec, s[6:7]
	v_mov_b32_e32 v8, v9
                                        ; implicit-def: $vgpr22
.LBB27_76:                              ;   in Loop: Header=BB27_30 Depth=1
	s_or_saveexec_b64 s[0:1], s[0:1]
	v_mov_b32_e32 v24, 0
	s_xor_b64 exec, exec, s[0:1]
	s_cbranch_execz .LBB27_78
; %bb.77:                               ;   in Loop: Header=BB27_30 Depth=1
	scratch_load_dwordx2 v[20:21], v9, off
	v_add_u32_e32 v24, -8, v22
.LBB27_78:                              ;   in Loop: Header=BB27_30 Depth=1
	s_or_b64 exec, exec, s[0:1]
	v_cmp_gt_u32_e32 vcc, 8, v24
	s_and_saveexec_b64 s[0:1], vcc
	s_xor_b64 s[0:1], exec, s[0:1]
	s_cbranch_execz .LBB27_84
; %bb.79:                               ;   in Loop: Header=BB27_30 Depth=1
	v_cmp_ne_u32_e32 vcc, 0, v24
	v_mov_b64_e32 v[22:23], 0
	s_and_saveexec_b64 s[6:7], vcc
	s_cbranch_execz .LBB27_83
; %bb.80:                               ;   in Loop: Header=BB27_30 Depth=1
	s_mov_b64 s[10:11], 0
	v_mov_b64_e32 v[22:23], 0
	s_mov_b64 s[12:13], 0
.LBB27_81:                              ;   Parent Loop BB27_30 Depth=1
                                        ; =>  This Inner Loop Header: Depth=2
	scratch_load_ubyte v9, v8, off
	v_mov_b32_e32 v27, s16
	v_add_u32_e32 v24, -1, v24
	v_cmp_eq_u32_e32 vcc, 0, v24
	v_add_u32_e32 v8, 1, v8
	s_waitcnt vmcnt(0)
	v_and_b32_e32 v26, 0xffff, v9
	v_lshlrev_b64 v[26:27], s12, v[26:27]
	s_add_u32 s12, s12, 8
	s_addc_u32 s13, s13, 0
	v_or_b32_e32 v23, v27, v23
	s_or_b64 s[10:11], vcc, s[10:11]
	v_or_b32_e32 v22, v26, v22
	s_andn2_b64 exec, exec, s[10:11]
	s_cbranch_execnz .LBB27_81
; %bb.82:                               ;   in Loop: Header=BB27_30 Depth=1
	s_or_b64 exec, exec, s[10:11]
.LBB27_83:                              ;   in Loop: Header=BB27_30 Depth=1
	s_or_b64 exec, exec, s[6:7]
                                        ; implicit-def: $vgpr8
.LBB27_84:                              ;   in Loop: Header=BB27_30 Depth=1
	s_andn2_saveexec_b64 s[0:1], s[0:1]
	s_cbranch_execz .LBB27_86
; %bb.85:                               ;   in Loop: Header=BB27_30 Depth=1
	scratch_load_dwordx2 v[22:23], v8, off
.LBB27_86:                              ;   in Loop: Header=BB27_30 Depth=1
	s_or_b64 exec, exec, s[0:1]
	v_readfirstlane_b32 s0, v38
	v_mov_b64_e32 v[8:9], 0
	s_nop 0
	v_cmp_eq_u32_e64 s[0:1], s0, v38
	s_and_saveexec_b64 s[6:7], s[0:1]
	s_cbranch_execz .LBB27_92
; %bb.87:                               ;   in Loop: Header=BB27_30 Depth=1
	global_load_dwordx2 v[26:27], v31, s[2:3] offset:24 sc0 sc1
	s_waitcnt vmcnt(0)
	buffer_inv sc0 sc1
	global_load_dwordx2 v[8:9], v31, s[2:3] offset:40
	global_load_dwordx2 v[24:25], v31, s[2:3]
	s_waitcnt vmcnt(1)
	v_and_b32_e32 v8, v8, v26
	v_and_b32_e32 v9, v9, v27
	v_mul_lo_u32 v9, v9, 24
	v_mul_hi_u32 v36, v8, 24
	v_add_u32_e32 v9, v36, v9
	v_mul_lo_u32 v8, v8, 24
	s_waitcnt vmcnt(0)
	v_lshl_add_u64 v[8:9], v[24:25], 0, v[8:9]
	global_load_dwordx2 v[24:25], v[8:9], off sc0 sc1
	s_waitcnt vmcnt(0)
	global_atomic_cmpswap_x2 v[8:9], v31, v[24:27], s[2:3] offset:24 sc0 sc1
	s_waitcnt vmcnt(0)
	buffer_inv sc0 sc1
	v_cmp_ne_u64_e32 vcc, v[8:9], v[26:27]
	s_and_saveexec_b64 s[10:11], vcc
	s_cbranch_execz .LBB27_91
; %bb.88:                               ;   in Loop: Header=BB27_30 Depth=1
	s_mov_b64 s[12:13], 0
.LBB27_89:                              ;   Parent Loop BB27_30 Depth=1
                                        ; =>  This Inner Loop Header: Depth=2
	s_sleep 1
	global_load_dwordx2 v[24:25], v31, s[2:3] offset:40
	global_load_dwordx2 v[36:37], v31, s[2:3]
	v_mov_b64_e32 v[26:27], v[8:9]
	s_waitcnt vmcnt(1)
	v_and_b32_e32 v8, v24, v26
	s_waitcnt vmcnt(0)
	v_mad_u64_u32 v[8:9], s[14:15], v8, 24, v[36:37]
	v_and_b32_e32 v25, v25, v27
	v_mov_b32_e32 v24, v9
	v_mad_u64_u32 v[24:25], s[14:15], v25, 24, v[24:25]
	v_mov_b32_e32 v9, v24
	global_load_dwordx2 v[24:25], v[8:9], off sc0 sc1
	s_waitcnt vmcnt(0)
	global_atomic_cmpswap_x2 v[8:9], v31, v[24:27], s[2:3] offset:24 sc0 sc1
	s_waitcnt vmcnt(0)
	buffer_inv sc0 sc1
	v_cmp_eq_u64_e32 vcc, v[8:9], v[26:27]
	s_or_b64 s[12:13], vcc, s[12:13]
	s_andn2_b64 exec, exec, s[12:13]
	s_cbranch_execnz .LBB27_89
; %bb.90:                               ;   in Loop: Header=BB27_30 Depth=1
	s_or_b64 exec, exec, s[12:13]
.LBB27_91:                              ;   in Loop: Header=BB27_30 Depth=1
	s_or_b64 exec, exec, s[10:11]
.LBB27_92:                              ;   in Loop: Header=BB27_30 Depth=1
	s_or_b64 exec, exec, s[6:7]
	global_load_dwordx2 v[36:37], v31, s[2:3] offset:40
	global_load_dwordx4 v[24:27], v31, s[2:3]
	v_readfirstlane_b32 s7, v9
	v_readfirstlane_b32 s6, v8
	s_mov_b64 s[10:11], exec
	s_waitcnt vmcnt(1)
	v_readfirstlane_b32 s12, v36
	v_readfirstlane_b32 s13, v37
	s_and_b64 s[12:13], s[12:13], s[6:7]
	s_mul_i32 s14, s13, 24
	s_mul_hi_u32 s15, s12, 24
	s_add_i32 s15, s15, s14
	s_mul_i32 s14, s12, 24
	s_waitcnt vmcnt(0)
	v_lshl_add_u64 v[36:37], v[24:25], 0, s[14:15]
	s_and_saveexec_b64 s[14:15], s[0:1]
	s_cbranch_execz .LBB27_94
; %bb.93:                               ;   in Loop: Header=BB27_30 Depth=1
	v_mov_b64_e32 v[8:9], s[10:11]
	global_store_dwordx4 v[36:37], v[8:11], off offset:8
.LBB27_94:                              ;   in Loop: Header=BB27_30 Depth=1
	s_or_b64 exec, exec, s[14:15]
	s_lshl_b64 s[10:11], s[12:13], 12
	v_cmp_gt_u64_e32 vcc, 57, v[28:29]
	v_lshl_add_u64 v[8:9], v[26:27], 0, s[10:11]
	v_and_b32_e32 v0, 0xffffff1f, v0
	v_cndmask_b32_e32 v26, 0, v32, vcc
	v_lshl_add_u32 v27, v34, 2, 28
	v_or_b32_e32 v0, v0, v26
	v_and_or_b32 v0, v27, s17, v0
	v_readfirstlane_b32 s10, v8
	v_readfirstlane_b32 s11, v9
	s_nop 4
	global_store_dwordx4 v30, v[0:3], s[10:11]
	global_store_dwordx4 v30, v[12:15], s[10:11] offset:16
	global_store_dwordx4 v30, v[16:19], s[10:11] offset:32
	;; [unrolled: 1-line block ×3, first 2 shown]
	s_and_saveexec_b64 s[10:11], s[0:1]
	s_cbranch_execz .LBB27_102
; %bb.95:                               ;   in Loop: Header=BB27_30 Depth=1
	global_load_dwordx2 v[16:17], v31, s[2:3] offset:32 sc0 sc1
	global_load_dwordx2 v[0:1], v31, s[2:3] offset:40
	v_mov_b32_e32 v14, s6
	v_mov_b32_e32 v15, s7
	s_waitcnt vmcnt(0)
	v_readfirstlane_b32 s12, v0
	v_readfirstlane_b32 s13, v1
	s_and_b64 s[12:13], s[12:13], s[6:7]
	s_mul_i32 s13, s13, 24
	s_mul_hi_u32 s14, s12, 24
	s_mul_i32 s12, s12, 24
	s_add_i32 s13, s14, s13
	v_lshl_add_u64 v[12:13], v[24:25], 0, s[12:13]
	global_store_dwordx2 v[12:13], v[16:17], off
	buffer_wbl2 sc0 sc1
	s_waitcnt vmcnt(0)
	global_atomic_cmpswap_x2 v[2:3], v31, v[14:17], s[2:3] offset:32 sc0 sc1
	s_waitcnt vmcnt(0)
	v_cmp_ne_u64_e32 vcc, v[2:3], v[16:17]
	s_and_saveexec_b64 s[12:13], vcc
	s_cbranch_execz .LBB27_98
; %bb.96:                               ;   in Loop: Header=BB27_30 Depth=1
	s_mov_b64 s[14:15], 0
.LBB27_97:                              ;   Parent Loop BB27_30 Depth=1
                                        ; =>  This Inner Loop Header: Depth=2
	s_sleep 1
	global_store_dwordx2 v[12:13], v[2:3], off
	v_mov_b32_e32 v0, s6
	v_mov_b32_e32 v1, s7
	buffer_wbl2 sc0 sc1
	s_waitcnt vmcnt(0)
	global_atomic_cmpswap_x2 v[0:1], v31, v[0:3], s[2:3] offset:32 sc0 sc1
	s_waitcnt vmcnt(0)
	v_cmp_eq_u64_e32 vcc, v[0:1], v[2:3]
	s_or_b64 s[14:15], vcc, s[14:15]
	v_mov_b64_e32 v[2:3], v[0:1]
	s_andn2_b64 exec, exec, s[14:15]
	s_cbranch_execnz .LBB27_97
.LBB27_98:                              ;   in Loop: Header=BB27_30 Depth=1
	s_or_b64 exec, exec, s[12:13]
	global_load_dwordx2 v[0:1], v31, s[2:3] offset:16
	s_mov_b64 s[14:15], exec
	v_mbcnt_lo_u32_b32 v2, s14, 0
	v_mbcnt_hi_u32_b32 v2, s15, v2
	v_cmp_eq_u32_e32 vcc, 0, v2
	s_and_saveexec_b64 s[12:13], vcc
	s_cbranch_execz .LBB27_100
; %bb.99:                               ;   in Loop: Header=BB27_30 Depth=1
	s_bcnt1_i32_b64 s14, s[14:15]
	v_mov_b32_e32 v2, s14
	v_mov_b32_e32 v3, v31
	buffer_wbl2 sc0 sc1
	s_waitcnt vmcnt(0)
	global_atomic_add_x2 v[0:1], v[2:3], off offset:8 sc1
.LBB27_100:                             ;   in Loop: Header=BB27_30 Depth=1
	s_or_b64 exec, exec, s[12:13]
	s_waitcnt vmcnt(0)
	global_load_dwordx2 v[2:3], v[0:1], off offset:16
	s_waitcnt vmcnt(0)
	v_cmp_eq_u64_e32 vcc, 0, v[2:3]
	s_cbranch_vccnz .LBB27_102
; %bb.101:                              ;   in Loop: Header=BB27_30 Depth=1
	global_load_dword v0, v[0:1], off offset:24
	v_mov_b32_e32 v1, v31
	s_waitcnt vmcnt(0)
	v_readfirstlane_b32 s12, v0
	s_and_b32 m0, s12, 0xffffff
	buffer_wbl2 sc0 sc1
	global_store_dwordx2 v[2:3], v[0:1], off sc0 sc1
	s_sendmsg sendmsg(MSG_INTERRUPT)
.LBB27_102:                             ;   in Loop: Header=BB27_30 Depth=1
	s_or_b64 exec, exec, s[10:11]
	v_lshl_add_u64 v[0:1], v[8:9], 0, v[30:31]
	s_branch .LBB27_106
.LBB27_103:                             ;   in Loop: Header=BB27_106 Depth=2
	s_or_b64 exec, exec, s[10:11]
	v_readfirstlane_b32 s10, v2
	s_cmp_eq_u32 s10, 0
	s_cbranch_scc1 .LBB27_105
; %bb.104:                              ;   in Loop: Header=BB27_106 Depth=2
	s_sleep 1
	s_cbranch_execnz .LBB27_106
	s_branch .LBB27_108
.LBB27_105:                             ;   in Loop: Header=BB27_30 Depth=1
	s_branch .LBB27_108
.LBB27_106:                             ;   Parent Loop BB27_30 Depth=1
                                        ; =>  This Inner Loop Header: Depth=2
	v_mov_b32_e32 v2, 1
	s_and_saveexec_b64 s[10:11], s[0:1]
	s_cbranch_execz .LBB27_103
; %bb.107:                              ;   in Loop: Header=BB27_106 Depth=2
	global_load_dword v2, v[36:37], off offset:20 sc0 sc1
	s_waitcnt vmcnt(0)
	buffer_inv sc0 sc1
	v_and_b32_e32 v2, 1, v2
	s_branch .LBB27_103
.LBB27_108:                             ;   in Loop: Header=BB27_30 Depth=1
	global_load_dwordx2 v[0:1], v[0:1], off
	s_and_saveexec_b64 s[10:11], s[0:1]
	s_cbranch_execz .LBB27_29
; %bb.109:                              ;   in Loop: Header=BB27_30 Depth=1
	global_load_dwordx2 v[2:3], v31, s[2:3] offset:40
	global_load_dwordx2 v[16:17], v31, s[2:3] offset:24 sc0 sc1
	global_load_dwordx2 v[8:9], v31, s[2:3]
	s_waitcnt vmcnt(2)
	v_readfirstlane_b32 s12, v2
	v_readfirstlane_b32 s13, v3
	s_add_u32 s14, s12, 1
	s_addc_u32 s15, s13, 0
	s_add_u32 s0, s14, s6
	s_addc_u32 s1, s15, s7
	s_cmp_eq_u64 s[0:1], 0
	s_cselect_b32 s1, s15, s1
	s_cselect_b32 s0, s14, s0
	s_and_b64 s[6:7], s[0:1], s[12:13]
	s_mul_i32 s7, s7, 24
	s_mul_hi_u32 s12, s6, 24
	s_mul_i32 s6, s6, 24
	s_add_i32 s7, s12, s7
	s_waitcnt vmcnt(0)
	v_lshl_add_u64 v[2:3], v[8:9], 0, s[6:7]
	v_mov_b32_e32 v14, s0
	global_store_dwordx2 v[2:3], v[16:17], off
	v_mov_b32_e32 v15, s1
	buffer_wbl2 sc0 sc1
	s_waitcnt vmcnt(0)
	global_atomic_cmpswap_x2 v[14:15], v31, v[14:17], s[2:3] offset:24 sc0 sc1
	s_waitcnt vmcnt(0)
	v_cmp_ne_u64_e32 vcc, v[14:15], v[16:17]
	s_and_b64 exec, exec, vcc
	s_cbranch_execz .LBB27_29
; %bb.110:                              ;   in Loop: Header=BB27_30 Depth=1
	s_mov_b64 s[6:7], 0
.LBB27_111:                             ;   Parent Loop BB27_30 Depth=1
                                        ; =>  This Inner Loop Header: Depth=2
	s_sleep 1
	global_store_dwordx2 v[2:3], v[14:15], off
	v_mov_b32_e32 v12, s0
	v_mov_b32_e32 v13, s1
	buffer_wbl2 sc0 sc1
	s_waitcnt vmcnt(0)
	global_atomic_cmpswap_x2 v[8:9], v31, v[12:15], s[2:3] offset:24 sc0 sc1
	s_waitcnt vmcnt(0)
	v_cmp_eq_u64_e32 vcc, v[8:9], v[14:15]
	s_or_b64 s[6:7], vcc, s[6:7]
	v_mov_b64_e32 v[14:15], v[8:9]
	s_andn2_b64 exec, exec, s[6:7]
	s_cbranch_execnz .LBB27_111
	s_branch .LBB27_29
.LBB27_112:
                                        ; implicit-def: $vgpr0_vgpr1
	s_cbranch_execnz .LBB27_114
	s_branch .LBB27_140
.LBB27_113:
	s_or_b64 exec, exec, s[4:5]
	s_branch .LBB27_140
.LBB27_114:
	v_readfirstlane_b32 s0, v38
	v_mov_b64_e32 v[8:9], 0
	s_nop 0
	v_cmp_eq_u32_e64 s[0:1], s0, v38
	s_and_saveexec_b64 s[4:5], s[0:1]
	s_cbranch_execz .LBB27_120
; %bb.115:
	s_waitcnt vmcnt(0)
	v_mov_b32_e32 v0, 0
	global_load_dwordx2 v[10:11], v0, s[2:3] offset:24 sc0 sc1
	s_waitcnt vmcnt(0)
	buffer_inv sc0 sc1
	global_load_dwordx2 v[2:3], v0, s[2:3] offset:40
	global_load_dwordx2 v[8:9], v0, s[2:3]
	s_waitcnt vmcnt(1)
	v_and_b32_e32 v1, v2, v10
	v_and_b32_e32 v2, v3, v11
	v_mul_lo_u32 v2, v2, 24
	v_mul_hi_u32 v3, v1, 24
	v_add_u32_e32 v3, v3, v2
	v_mul_lo_u32 v2, v1, 24
	s_waitcnt vmcnt(0)
	v_lshl_add_u64 v[2:3], v[8:9], 0, v[2:3]
	global_load_dwordx2 v[8:9], v[2:3], off sc0 sc1
	s_waitcnt vmcnt(0)
	global_atomic_cmpswap_x2 v[8:9], v0, v[8:11], s[2:3] offset:24 sc0 sc1
	s_waitcnt vmcnt(0)
	buffer_inv sc0 sc1
	v_cmp_ne_u64_e32 vcc, v[8:9], v[10:11]
	s_and_saveexec_b64 s[6:7], vcc
	s_cbranch_execz .LBB27_119
; %bb.116:
	s_mov_b64 s[10:11], 0
.LBB27_117:                             ; =>This Inner Loop Header: Depth=1
	s_sleep 1
	global_load_dwordx2 v[2:3], v0, s[2:3] offset:40
	global_load_dwordx2 v[12:13], v0, s[2:3]
	v_mov_b64_e32 v[10:11], v[8:9]
	s_waitcnt vmcnt(1)
	v_and_b32_e32 v2, v2, v10
	v_and_b32_e32 v1, v3, v11
	s_waitcnt vmcnt(0)
	v_mad_u64_u32 v[2:3], s[12:13], v2, 24, v[12:13]
	v_mov_b32_e32 v8, v3
	v_mad_u64_u32 v[8:9], s[12:13], v1, 24, v[8:9]
	v_mov_b32_e32 v3, v8
	global_load_dwordx2 v[8:9], v[2:3], off sc0 sc1
	s_waitcnt vmcnt(0)
	global_atomic_cmpswap_x2 v[8:9], v0, v[8:11], s[2:3] offset:24 sc0 sc1
	s_waitcnt vmcnt(0)
	buffer_inv sc0 sc1
	v_cmp_eq_u64_e32 vcc, v[8:9], v[10:11]
	s_or_b64 s[10:11], vcc, s[10:11]
	s_andn2_b64 exec, exec, s[10:11]
	s_cbranch_execnz .LBB27_117
; %bb.118:
	s_or_b64 exec, exec, s[10:11]
.LBB27_119:
	s_or_b64 exec, exec, s[6:7]
.LBB27_120:
	s_or_b64 exec, exec, s[4:5]
	v_mov_b32_e32 v31, 0
	global_load_dwordx2 v[10:11], v31, s[2:3] offset:40
	global_load_dwordx4 v[0:3], v31, s[2:3]
	v_readfirstlane_b32 s5, v9
	v_readfirstlane_b32 s4, v8
	s_mov_b64 s[6:7], exec
	s_waitcnt vmcnt(1)
	v_readfirstlane_b32 s10, v10
	v_readfirstlane_b32 s11, v11
	s_and_b64 s[10:11], s[10:11], s[4:5]
	s_mul_i32 s12, s11, 24
	s_mul_hi_u32 s13, s10, 24
	s_add_i32 s13, s13, s12
	s_mul_i32 s12, s10, 24
	s_waitcnt vmcnt(0)
	v_lshl_add_u64 v[10:11], v[0:1], 0, s[12:13]
	s_and_saveexec_b64 s[12:13], s[0:1]
	s_cbranch_execz .LBB27_122
; %bb.121:
	v_mov_b64_e32 v[12:13], s[6:7]
	v_mov_b32_e32 v14, 2
	v_mov_b32_e32 v15, 1
	global_store_dwordx4 v[10:11], v[12:15], off offset:8
.LBB27_122:
	s_or_b64 exec, exec, s[12:13]
	s_lshl_b64 s[6:7], s[10:11], 12
	v_lshl_add_u64 v[12:13], v[2:3], 0, s[6:7]
	s_movk_i32 s6, 0xff1f
	s_mov_b32 s12, 0
	v_and_or_b32 v6, v6, s6, 32
	v_mov_b32_e32 v8, v31
	v_mov_b32_e32 v9, v31
	v_readfirstlane_b32 s6, v12
	v_readfirstlane_b32 s7, v13
	s_mov_b32 s13, s12
	s_mov_b32 s14, s12
	;; [unrolled: 1-line block ×3, first 2 shown]
	s_nop 1
	global_store_dwordx4 v30, v[6:9], s[6:7]
	s_nop 1
	v_mov_b64_e32 v[6:7], s[12:13]
	v_mov_b64_e32 v[8:9], s[14:15]
	global_store_dwordx4 v30, v[6:9], s[6:7] offset:16
	global_store_dwordx4 v30, v[6:9], s[6:7] offset:32
	;; [unrolled: 1-line block ×3, first 2 shown]
	s_and_saveexec_b64 s[6:7], s[0:1]
	s_cbranch_execz .LBB27_130
; %bb.123:
	v_mov_b32_e32 v8, 0
	global_load_dwordx2 v[16:17], v8, s[2:3] offset:32 sc0 sc1
	global_load_dwordx2 v[2:3], v8, s[2:3] offset:40
	v_mov_b32_e32 v14, s4
	v_mov_b32_e32 v15, s5
	s_waitcnt vmcnt(0)
	v_readfirstlane_b32 s10, v2
	v_readfirstlane_b32 s11, v3
	s_and_b64 s[10:11], s[10:11], s[4:5]
	s_mul_i32 s11, s11, 24
	s_mul_hi_u32 s12, s10, 24
	s_mul_i32 s10, s10, 24
	s_add_i32 s11, s12, s11
	v_lshl_add_u64 v[6:7], v[0:1], 0, s[10:11]
	global_store_dwordx2 v[6:7], v[16:17], off
	buffer_wbl2 sc0 sc1
	s_waitcnt vmcnt(0)
	global_atomic_cmpswap_x2 v[2:3], v8, v[14:17], s[2:3] offset:32 sc0 sc1
	s_waitcnt vmcnt(0)
	v_cmp_ne_u64_e32 vcc, v[2:3], v[16:17]
	s_and_saveexec_b64 s[10:11], vcc
	s_cbranch_execz .LBB27_126
; %bb.124:
	s_mov_b64 s[12:13], 0
.LBB27_125:                             ; =>This Inner Loop Header: Depth=1
	s_sleep 1
	global_store_dwordx2 v[6:7], v[2:3], off
	v_mov_b32_e32 v0, s4
	v_mov_b32_e32 v1, s5
	buffer_wbl2 sc0 sc1
	s_waitcnt vmcnt(0)
	global_atomic_cmpswap_x2 v[0:1], v8, v[0:3], s[2:3] offset:32 sc0 sc1
	s_waitcnt vmcnt(0)
	v_cmp_eq_u64_e32 vcc, v[0:1], v[2:3]
	s_or_b64 s[12:13], vcc, s[12:13]
	v_mov_b64_e32 v[2:3], v[0:1]
	s_andn2_b64 exec, exec, s[12:13]
	s_cbranch_execnz .LBB27_125
.LBB27_126:
	s_or_b64 exec, exec, s[10:11]
	v_mov_b32_e32 v3, 0
	global_load_dwordx2 v[0:1], v3, s[2:3] offset:16
	s_mov_b64 s[10:11], exec
	v_mbcnt_lo_u32_b32 v2, s10, 0
	v_mbcnt_hi_u32_b32 v2, s11, v2
	v_cmp_eq_u32_e32 vcc, 0, v2
	s_and_saveexec_b64 s[12:13], vcc
	s_cbranch_execz .LBB27_128
; %bb.127:
	s_bcnt1_i32_b64 s10, s[10:11]
	v_mov_b32_e32 v2, s10
	buffer_wbl2 sc0 sc1
	s_waitcnt vmcnt(0)
	global_atomic_add_x2 v[0:1], v[2:3], off offset:8 sc1
.LBB27_128:
	s_or_b64 exec, exec, s[12:13]
	s_waitcnt vmcnt(0)
	global_load_dwordx2 v[2:3], v[0:1], off offset:16
	s_waitcnt vmcnt(0)
	v_cmp_eq_u64_e32 vcc, 0, v[2:3]
	s_cbranch_vccnz .LBB27_130
; %bb.129:
	global_load_dword v0, v[0:1], off offset:24
	v_mov_b32_e32 v1, 0
	s_waitcnt vmcnt(0)
	v_readfirstlane_b32 s10, v0
	s_and_b32 m0, s10, 0xffffff
	buffer_wbl2 sc0 sc1
	global_store_dwordx2 v[2:3], v[0:1], off sc0 sc1
	s_sendmsg sendmsg(MSG_INTERRUPT)
.LBB27_130:
	s_or_b64 exec, exec, s[6:7]
	v_lshl_add_u64 v[0:1], v[12:13], 0, v[30:31]
	s_branch .LBB27_134
.LBB27_131:                             ;   in Loop: Header=BB27_134 Depth=1
	s_or_b64 exec, exec, s[6:7]
	v_readfirstlane_b32 s6, v2
	s_cmp_eq_u32 s6, 0
	s_cbranch_scc1 .LBB27_133
; %bb.132:                              ;   in Loop: Header=BB27_134 Depth=1
	s_sleep 1
	s_cbranch_execnz .LBB27_134
	s_branch .LBB27_136
.LBB27_133:
	s_branch .LBB27_136
.LBB27_134:                             ; =>This Inner Loop Header: Depth=1
	v_mov_b32_e32 v2, 1
	s_and_saveexec_b64 s[6:7], s[0:1]
	s_cbranch_execz .LBB27_131
; %bb.135:                              ;   in Loop: Header=BB27_134 Depth=1
	global_load_dword v2, v[10:11], off offset:20 sc0 sc1
	s_waitcnt vmcnt(0)
	buffer_inv sc0 sc1
	v_and_b32_e32 v2, 1, v2
	s_branch .LBB27_131
.LBB27_136:
	global_load_dwordx2 v[0:1], v[0:1], off
	s_and_saveexec_b64 s[6:7], s[0:1]
	s_cbranch_execz .LBB27_139
; %bb.137:
	v_mov_b32_e32 v10, 0
	global_load_dwordx2 v[2:3], v10, s[2:3] offset:40
	global_load_dwordx2 v[14:15], v10, s[2:3] offset:24 sc0 sc1
	global_load_dwordx2 v[6:7], v10, s[2:3]
	s_waitcnt vmcnt(2)
	v_readfirstlane_b32 s10, v2
	v_readfirstlane_b32 s11, v3
	s_add_u32 s12, s10, 1
	s_addc_u32 s13, s11, 0
	s_add_u32 s0, s12, s4
	s_addc_u32 s1, s13, s5
	s_cmp_eq_u64 s[0:1], 0
	s_cselect_b32 s1, s13, s1
	s_cselect_b32 s0, s12, s0
	s_and_b64 s[4:5], s[0:1], s[10:11]
	s_mul_i32 s5, s5, 24
	s_mul_hi_u32 s10, s4, 24
	s_mul_i32 s4, s4, 24
	s_add_i32 s5, s10, s5
	s_waitcnt vmcnt(0)
	v_lshl_add_u64 v[2:3], v[6:7], 0, s[4:5]
	v_mov_b32_e32 v12, s0
	global_store_dwordx2 v[2:3], v[14:15], off
	v_mov_b32_e32 v13, s1
	buffer_wbl2 sc0 sc1
	s_waitcnt vmcnt(0)
	global_atomic_cmpswap_x2 v[8:9], v10, v[12:15], s[2:3] offset:24 sc0 sc1
	s_mov_b64 s[4:5], 0
	s_waitcnt vmcnt(0)
	v_cmp_ne_u64_e32 vcc, v[8:9], v[14:15]
	s_and_b64 exec, exec, vcc
	s_cbranch_execz .LBB27_139
.LBB27_138:                             ; =>This Inner Loop Header: Depth=1
	s_sleep 1
	global_store_dwordx2 v[2:3], v[8:9], off
	v_mov_b32_e32 v6, s0
	v_mov_b32_e32 v7, s1
	buffer_wbl2 sc0 sc1
	s_waitcnt vmcnt(0)
	global_atomic_cmpswap_x2 v[6:7], v10, v[6:9], s[2:3] offset:24 sc0 sc1
	s_waitcnt vmcnt(0)
	v_cmp_eq_u64_e32 vcc, v[6:7], v[8:9]
	s_or_b64 s[4:5], vcc, s[4:5]
	v_mov_b64_e32 v[8:9], v[6:7]
	s_andn2_b64 exec, exec, s[4:5]
	s_cbranch_execnz .LBB27_138
.LBB27_139:
	s_or_b64 exec, exec, s[6:7]
.LBB27_140:
	s_getpc_b64 s[4:5]
	s_add_u32 s4, s4, .str.1@rel32@lo+4
	s_addc_u32 s5, s5, .str.1@rel32@hi+12
	s_cmp_lg_u64 s[4:5], 0
	s_cbranch_scc0 .LBB27_225
; %bb.141:
	s_getpc_b64 s[0:1]
	s_add_u32 s0, s0, .str.1@rel32@lo+93
	s_addc_u32 s1, s1, .str.1@rel32@hi+101
	s_sub_i32 s6, s0, s4
	s_ashr_i32 s7, s6, 31
	s_waitcnt vmcnt(0)
	v_and_b32_e32 v2, 2, v0
	v_mov_b32_e32 v33, 0
	v_and_b32_e32 v6, -3, v0
	v_mov_b32_e32 v7, v1
	v_mov_b32_e32 v12, 2
	;; [unrolled: 1-line block ×3, first 2 shown]
	s_branch .LBB27_143
.LBB27_142:                             ;   in Loop: Header=BB27_143 Depth=1
	s_or_b64 exec, exec, s[14:15]
	s_sub_u32 s6, s6, s10
	s_subb_u32 s7, s7, s11
	s_add_u32 s4, s4, s10
	s_addc_u32 s5, s5, s11
	s_cmp_lg_u64 s[6:7], 0
	s_cbranch_scc0 .LBB27_226
.LBB27_143:                             ; =>This Loop Header: Depth=1
                                        ;     Child Loop BB27_146 Depth 2
                                        ;     Child Loop BB27_154 Depth 2
	;; [unrolled: 1-line block ×11, first 2 shown]
	v_cmp_lt_u64_e64 s[0:1], s[6:7], 56
	s_and_b64 s[0:1], s[0:1], exec
	s_cselect_b32 s11, s7, 0
	s_cselect_b32 s10, s6, 56
	v_cmp_gt_u64_e64 s[12:13], s[6:7], 7
	s_add_u32 s0, s4, 8
	s_addc_u32 s1, s5, 0
	s_and_b64 vcc, exec, s[12:13]
	s_cbranch_vccnz .LBB27_147
; %bb.144:                              ;   in Loop: Header=BB27_143 Depth=1
	s_cmp_eq_u64 s[6:7], 0
	s_cbranch_scc1 .LBB27_148
; %bb.145:                              ;   in Loop: Header=BB27_143 Depth=1
	s_lshl_b64 s[0:1], s[10:11], 3
	s_mov_b64 s[12:13], 0
	v_mov_b64_e32 v[8:9], 0
	s_mov_b64 s[14:15], s[4:5]
.LBB27_146:                             ;   Parent Loop BB27_143 Depth=1
                                        ; =>  This Inner Loop Header: Depth=2
	global_load_ubyte v3, v33, s[14:15]
	s_waitcnt vmcnt(0)
	v_and_b32_e32 v32, 0xffff, v3
	v_lshlrev_b64 v[10:11], s12, v[32:33]
	s_add_u32 s12, s12, 8
	s_addc_u32 s13, s13, 0
	s_add_u32 s14, s14, 1
	s_addc_u32 s15, s15, 0
	v_or_b32_e32 v8, v10, v8
	s_cmp_lg_u32 s0, s12
	v_or_b32_e32 v9, v11, v9
	s_cbranch_scc1 .LBB27_146
	s_branch .LBB27_149
.LBB27_147:                             ;   in Loop: Header=BB27_143 Depth=1
	s_mov_b32 s16, 0
	s_branch .LBB27_150
.LBB27_148:                             ;   in Loop: Header=BB27_143 Depth=1
	v_mov_b64_e32 v[8:9], 0
.LBB27_149:                             ;   in Loop: Header=BB27_143 Depth=1
	s_mov_b64 s[0:1], s[4:5]
	s_mov_b32 s16, 0
	s_cbranch_execnz .LBB27_151
.LBB27_150:                             ;   in Loop: Header=BB27_143 Depth=1
	global_load_dwordx2 v[8:9], v33, s[4:5]
	s_add_i32 s16, s10, -8
.LBB27_151:                             ;   in Loop: Header=BB27_143 Depth=1
	s_add_u32 s12, s0, 8
	s_addc_u32 s13, s1, 0
	s_cmp_gt_u32 s16, 7
	s_cbranch_scc1 .LBB27_155
; %bb.152:                              ;   in Loop: Header=BB27_143 Depth=1
	s_cmp_eq_u32 s16, 0
	s_cbranch_scc1 .LBB27_156
; %bb.153:                              ;   in Loop: Header=BB27_143 Depth=1
	s_mov_b64 s[12:13], 0
	v_mov_b64_e32 v[14:15], 0
	s_mov_b64 s[14:15], 0
.LBB27_154:                             ;   Parent Loop BB27_143 Depth=1
                                        ; =>  This Inner Loop Header: Depth=2
	s_add_u32 s18, s0, s14
	s_addc_u32 s19, s1, s15
	global_load_ubyte v3, v33, s[18:19]
	s_add_u32 s14, s14, 1
	s_addc_u32 s15, s15, 0
	s_waitcnt vmcnt(0)
	v_and_b32_e32 v32, 0xffff, v3
	v_lshlrev_b64 v[10:11], s12, v[32:33]
	s_add_u32 s12, s12, 8
	s_addc_u32 s13, s13, 0
	v_or_b32_e32 v14, v10, v14
	s_cmp_lg_u32 s16, s14
	v_or_b32_e32 v15, v11, v15
	s_cbranch_scc1 .LBB27_154
	s_branch .LBB27_157
.LBB27_155:                             ;   in Loop: Header=BB27_143 Depth=1
                                        ; implicit-def: $vgpr14_vgpr15
	s_mov_b32 s17, 0
	s_branch .LBB27_158
.LBB27_156:                             ;   in Loop: Header=BB27_143 Depth=1
	v_mov_b64_e32 v[14:15], 0
.LBB27_157:                             ;   in Loop: Header=BB27_143 Depth=1
	s_mov_b64 s[12:13], s[0:1]
	s_mov_b32 s17, 0
	s_cbranch_execnz .LBB27_159
.LBB27_158:                             ;   in Loop: Header=BB27_143 Depth=1
	global_load_dwordx2 v[14:15], v33, s[0:1]
	s_add_i32 s17, s16, -8
.LBB27_159:                             ;   in Loop: Header=BB27_143 Depth=1
	s_add_u32 s0, s12, 8
	s_addc_u32 s1, s13, 0
	s_cmp_gt_u32 s17, 7
	s_cbranch_scc1 .LBB27_163
; %bb.160:                              ;   in Loop: Header=BB27_143 Depth=1
	s_cmp_eq_u32 s17, 0
	s_cbranch_scc1 .LBB27_164
; %bb.161:                              ;   in Loop: Header=BB27_143 Depth=1
	s_mov_b64 s[0:1], 0
	v_mov_b64_e32 v[16:17], 0
	s_mov_b64 s[14:15], 0
.LBB27_162:                             ;   Parent Loop BB27_143 Depth=1
                                        ; =>  This Inner Loop Header: Depth=2
	s_add_u32 s18, s12, s14
	s_addc_u32 s19, s13, s15
	global_load_ubyte v3, v33, s[18:19]
	s_add_u32 s14, s14, 1
	s_addc_u32 s15, s15, 0
	s_waitcnt vmcnt(0)
	v_and_b32_e32 v32, 0xffff, v3
	v_lshlrev_b64 v[10:11], s0, v[32:33]
	s_add_u32 s0, s0, 8
	s_addc_u32 s1, s1, 0
	v_or_b32_e32 v16, v10, v16
	s_cmp_lg_u32 s17, s14
	v_or_b32_e32 v17, v11, v17
	s_cbranch_scc1 .LBB27_162
	s_branch .LBB27_165
.LBB27_163:                             ;   in Loop: Header=BB27_143 Depth=1
	s_mov_b32 s16, 0
	s_branch .LBB27_166
.LBB27_164:                             ;   in Loop: Header=BB27_143 Depth=1
	v_mov_b64_e32 v[16:17], 0
.LBB27_165:                             ;   in Loop: Header=BB27_143 Depth=1
	s_mov_b64 s[0:1], s[12:13]
	s_mov_b32 s16, 0
	s_cbranch_execnz .LBB27_167
.LBB27_166:                             ;   in Loop: Header=BB27_143 Depth=1
	global_load_dwordx2 v[16:17], v33, s[12:13]
	s_add_i32 s16, s17, -8
.LBB27_167:                             ;   in Loop: Header=BB27_143 Depth=1
	s_add_u32 s12, s0, 8
	s_addc_u32 s13, s1, 0
	s_cmp_gt_u32 s16, 7
	s_cbranch_scc1 .LBB27_171
; %bb.168:                              ;   in Loop: Header=BB27_143 Depth=1
	s_cmp_eq_u32 s16, 0
	s_cbranch_scc1 .LBB27_172
; %bb.169:                              ;   in Loop: Header=BB27_143 Depth=1
	s_mov_b64 s[12:13], 0
	v_mov_b64_e32 v[18:19], 0
	s_mov_b64 s[14:15], 0
.LBB27_170:                             ;   Parent Loop BB27_143 Depth=1
                                        ; =>  This Inner Loop Header: Depth=2
	s_add_u32 s18, s0, s14
	s_addc_u32 s19, s1, s15
	global_load_ubyte v3, v33, s[18:19]
	s_add_u32 s14, s14, 1
	s_addc_u32 s15, s15, 0
	s_waitcnt vmcnt(0)
	v_and_b32_e32 v32, 0xffff, v3
	v_lshlrev_b64 v[10:11], s12, v[32:33]
	s_add_u32 s12, s12, 8
	s_addc_u32 s13, s13, 0
	v_or_b32_e32 v18, v10, v18
	s_cmp_lg_u32 s16, s14
	v_or_b32_e32 v19, v11, v19
	s_cbranch_scc1 .LBB27_170
	s_branch .LBB27_173
.LBB27_171:                             ;   in Loop: Header=BB27_143 Depth=1
                                        ; implicit-def: $vgpr18_vgpr19
	s_mov_b32 s17, 0
	s_branch .LBB27_174
.LBB27_172:                             ;   in Loop: Header=BB27_143 Depth=1
	v_mov_b64_e32 v[18:19], 0
.LBB27_173:                             ;   in Loop: Header=BB27_143 Depth=1
	s_mov_b64 s[12:13], s[0:1]
	s_mov_b32 s17, 0
	s_cbranch_execnz .LBB27_175
.LBB27_174:                             ;   in Loop: Header=BB27_143 Depth=1
	global_load_dwordx2 v[18:19], v33, s[0:1]
	s_add_i32 s17, s16, -8
.LBB27_175:                             ;   in Loop: Header=BB27_143 Depth=1
	s_add_u32 s0, s12, 8
	s_addc_u32 s1, s13, 0
	s_cmp_gt_u32 s17, 7
	s_cbranch_scc1 .LBB27_179
; %bb.176:                              ;   in Loop: Header=BB27_143 Depth=1
	s_cmp_eq_u32 s17, 0
	s_cbranch_scc1 .LBB27_180
; %bb.177:                              ;   in Loop: Header=BB27_143 Depth=1
	s_mov_b64 s[0:1], 0
	v_mov_b64_e32 v[20:21], 0
	s_mov_b64 s[14:15], 0
.LBB27_178:                             ;   Parent Loop BB27_143 Depth=1
                                        ; =>  This Inner Loop Header: Depth=2
	s_add_u32 s18, s12, s14
	s_addc_u32 s19, s13, s15
	global_load_ubyte v3, v33, s[18:19]
	s_add_u32 s14, s14, 1
	s_addc_u32 s15, s15, 0
	s_waitcnt vmcnt(0)
	v_and_b32_e32 v32, 0xffff, v3
	v_lshlrev_b64 v[10:11], s0, v[32:33]
	s_add_u32 s0, s0, 8
	s_addc_u32 s1, s1, 0
	v_or_b32_e32 v20, v10, v20
	s_cmp_lg_u32 s17, s14
	v_or_b32_e32 v21, v11, v21
	s_cbranch_scc1 .LBB27_178
	s_branch .LBB27_181
.LBB27_179:                             ;   in Loop: Header=BB27_143 Depth=1
	s_mov_b32 s16, 0
	s_branch .LBB27_182
.LBB27_180:                             ;   in Loop: Header=BB27_143 Depth=1
	v_mov_b64_e32 v[20:21], 0
.LBB27_181:                             ;   in Loop: Header=BB27_143 Depth=1
	s_mov_b64 s[0:1], s[12:13]
	s_mov_b32 s16, 0
	s_cbranch_execnz .LBB27_183
.LBB27_182:                             ;   in Loop: Header=BB27_143 Depth=1
	global_load_dwordx2 v[20:21], v33, s[12:13]
	s_add_i32 s16, s17, -8
.LBB27_183:                             ;   in Loop: Header=BB27_143 Depth=1
	s_add_u32 s12, s0, 8
	s_addc_u32 s13, s1, 0
	s_cmp_gt_u32 s16, 7
	s_cbranch_scc1 .LBB27_187
; %bb.184:                              ;   in Loop: Header=BB27_143 Depth=1
	s_cmp_eq_u32 s16, 0
	s_cbranch_scc1 .LBB27_188
; %bb.185:                              ;   in Loop: Header=BB27_143 Depth=1
	s_mov_b64 s[12:13], 0
	v_mov_b64_e32 v[22:23], 0
	s_mov_b64 s[14:15], 0
.LBB27_186:                             ;   Parent Loop BB27_143 Depth=1
                                        ; =>  This Inner Loop Header: Depth=2
	s_add_u32 s18, s0, s14
	s_addc_u32 s19, s1, s15
	global_load_ubyte v3, v33, s[18:19]
	s_add_u32 s14, s14, 1
	s_addc_u32 s15, s15, 0
	s_waitcnt vmcnt(0)
	v_and_b32_e32 v32, 0xffff, v3
	v_lshlrev_b64 v[10:11], s12, v[32:33]
	s_add_u32 s12, s12, 8
	s_addc_u32 s13, s13, 0
	v_or_b32_e32 v22, v10, v22
	s_cmp_lg_u32 s16, s14
	v_or_b32_e32 v23, v11, v23
	s_cbranch_scc1 .LBB27_186
	s_branch .LBB27_189
.LBB27_187:                             ;   in Loop: Header=BB27_143 Depth=1
                                        ; implicit-def: $vgpr22_vgpr23
	s_mov_b32 s17, 0
	s_branch .LBB27_190
.LBB27_188:                             ;   in Loop: Header=BB27_143 Depth=1
	v_mov_b64_e32 v[22:23], 0
.LBB27_189:                             ;   in Loop: Header=BB27_143 Depth=1
	s_mov_b64 s[12:13], s[0:1]
	s_mov_b32 s17, 0
	s_cbranch_execnz .LBB27_191
.LBB27_190:                             ;   in Loop: Header=BB27_143 Depth=1
	global_load_dwordx2 v[22:23], v33, s[0:1]
	s_add_i32 s17, s16, -8
.LBB27_191:                             ;   in Loop: Header=BB27_143 Depth=1
	s_cmp_gt_u32 s17, 7
	s_cbranch_scc1 .LBB27_195
; %bb.192:                              ;   in Loop: Header=BB27_143 Depth=1
	s_cmp_eq_u32 s17, 0
	s_cbranch_scc1 .LBB27_196
; %bb.193:                              ;   in Loop: Header=BB27_143 Depth=1
	s_mov_b64 s[0:1], 0
	v_mov_b64_e32 v[24:25], 0
	s_mov_b64 s[14:15], s[12:13]
.LBB27_194:                             ;   Parent Loop BB27_143 Depth=1
                                        ; =>  This Inner Loop Header: Depth=2
	global_load_ubyte v3, v33, s[14:15]
	s_add_i32 s17, s17, -1
	s_waitcnt vmcnt(0)
	v_and_b32_e32 v32, 0xffff, v3
	v_lshlrev_b64 v[10:11], s0, v[32:33]
	s_add_u32 s0, s0, 8
	s_addc_u32 s1, s1, 0
	s_add_u32 s14, s14, 1
	s_addc_u32 s15, s15, 0
	v_or_b32_e32 v24, v10, v24
	s_cmp_lg_u32 s17, 0
	v_or_b32_e32 v25, v11, v25
	s_cbranch_scc1 .LBB27_194
	s_branch .LBB27_197
.LBB27_195:                             ;   in Loop: Header=BB27_143 Depth=1
	s_branch .LBB27_198
.LBB27_196:                             ;   in Loop: Header=BB27_143 Depth=1
	v_mov_b64_e32 v[24:25], 0
.LBB27_197:                             ;   in Loop: Header=BB27_143 Depth=1
	s_cbranch_execnz .LBB27_199
.LBB27_198:                             ;   in Loop: Header=BB27_143 Depth=1
	global_load_dwordx2 v[24:25], v33, s[12:13]
.LBB27_199:                             ;   in Loop: Header=BB27_143 Depth=1
	v_readfirstlane_b32 s0, v38
	v_mov_b64_e32 v[10:11], 0
	s_nop 0
	v_cmp_eq_u32_e64 s[0:1], s0, v38
	s_and_saveexec_b64 s[12:13], s[0:1]
	s_cbranch_execz .LBB27_205
; %bb.200:                              ;   in Loop: Header=BB27_143 Depth=1
	global_load_dwordx2 v[28:29], v33, s[2:3] offset:24 sc0 sc1
	s_waitcnt vmcnt(0)
	buffer_inv sc0 sc1
	global_load_dwordx2 v[10:11], v33, s[2:3] offset:40
	global_load_dwordx2 v[26:27], v33, s[2:3]
	s_waitcnt vmcnt(1)
	v_and_b32_e32 v3, v10, v28
	v_and_b32_e32 v10, v11, v29
	v_mul_lo_u32 v10, v10, 24
	v_mul_hi_u32 v11, v3, 24
	v_add_u32_e32 v11, v11, v10
	v_mul_lo_u32 v10, v3, 24
	s_waitcnt vmcnt(0)
	v_lshl_add_u64 v[10:11], v[26:27], 0, v[10:11]
	global_load_dwordx2 v[26:27], v[10:11], off sc0 sc1
	s_waitcnt vmcnt(0)
	global_atomic_cmpswap_x2 v[10:11], v33, v[26:29], s[2:3] offset:24 sc0 sc1
	s_waitcnt vmcnt(0)
	buffer_inv sc0 sc1
	v_cmp_ne_u64_e32 vcc, v[10:11], v[28:29]
	s_and_saveexec_b64 s[14:15], vcc
	s_cbranch_execz .LBB27_204
; %bb.201:                              ;   in Loop: Header=BB27_143 Depth=1
	s_mov_b64 s[16:17], 0
.LBB27_202:                             ;   Parent Loop BB27_143 Depth=1
                                        ; =>  This Inner Loop Header: Depth=2
	s_sleep 1
	global_load_dwordx2 v[26:27], v33, s[2:3] offset:40
	global_load_dwordx2 v[34:35], v33, s[2:3]
	v_mov_b64_e32 v[28:29], v[10:11]
	s_waitcnt vmcnt(1)
	v_and_b32_e32 v10, v26, v28
	s_waitcnt vmcnt(0)
	v_mad_u64_u32 v[10:11], s[18:19], v10, 24, v[34:35]
	v_and_b32_e32 v3, v27, v29
	v_mov_b32_e32 v26, v11
	v_mad_u64_u32 v[26:27], s[18:19], v3, 24, v[26:27]
	v_mov_b32_e32 v11, v26
	global_load_dwordx2 v[26:27], v[10:11], off sc0 sc1
	s_waitcnt vmcnt(0)
	global_atomic_cmpswap_x2 v[10:11], v33, v[26:29], s[2:3] offset:24 sc0 sc1
	s_waitcnt vmcnt(0)
	buffer_inv sc0 sc1
	v_cmp_eq_u64_e32 vcc, v[10:11], v[28:29]
	s_or_b64 s[16:17], vcc, s[16:17]
	s_andn2_b64 exec, exec, s[16:17]
	s_cbranch_execnz .LBB27_202
; %bb.203:                              ;   in Loop: Header=BB27_143 Depth=1
	s_or_b64 exec, exec, s[16:17]
.LBB27_204:                             ;   in Loop: Header=BB27_143 Depth=1
	s_or_b64 exec, exec, s[14:15]
.LBB27_205:                             ;   in Loop: Header=BB27_143 Depth=1
	s_or_b64 exec, exec, s[12:13]
	global_load_dwordx2 v[34:35], v33, s[2:3] offset:40
	global_load_dwordx4 v[26:29], v33, s[2:3]
	v_readfirstlane_b32 s13, v11
	v_readfirstlane_b32 s12, v10
	s_mov_b64 s[14:15], exec
	s_waitcnt vmcnt(1)
	v_readfirstlane_b32 s16, v34
	v_readfirstlane_b32 s17, v35
	s_and_b64 s[16:17], s[16:17], s[12:13]
	s_mul_i32 s18, s17, 24
	s_mul_hi_u32 s19, s16, 24
	s_add_i32 s19, s19, s18
	s_mul_i32 s18, s16, 24
	s_waitcnt vmcnt(0)
	v_lshl_add_u64 v[34:35], v[26:27], 0, s[18:19]
	s_and_saveexec_b64 s[18:19], s[0:1]
	s_cbranch_execz .LBB27_207
; %bb.206:                              ;   in Loop: Header=BB27_143 Depth=1
	v_mov_b64_e32 v[10:11], s[14:15]
	global_store_dwordx4 v[34:35], v[10:13], off offset:8
.LBB27_207:                             ;   in Loop: Header=BB27_143 Depth=1
	s_or_b64 exec, exec, s[18:19]
	s_lshl_b64 s[14:15], s[16:17], 12
	v_lshl_add_u64 v[10:11], v[28:29], 0, s[14:15]
	v_cmp_lt_u64_e64 vcc, s[6:7], 57
	s_lshl_b32 s14, s10, 2
	s_add_i32 s14, s14, 28
	v_cndmask_b32_e32 v3, 0, v2, vcc
	v_and_b32_e32 v6, 0xffffff1f, v6
	s_and_b32 s14, s14, 0x1e0
	v_or_b32_e32 v3, v6, v3
	v_or_b32_e32 v6, s14, v3
	v_readfirstlane_b32 s14, v10
	v_readfirstlane_b32 s15, v11
	s_nop 4
	global_store_dwordx4 v30, v[6:9], s[14:15]
	global_store_dwordx4 v30, v[14:17], s[14:15] offset:16
	global_store_dwordx4 v30, v[18:21], s[14:15] offset:32
	;; [unrolled: 1-line block ×3, first 2 shown]
	s_and_saveexec_b64 s[14:15], s[0:1]
	s_cbranch_execz .LBB27_215
; %bb.208:                              ;   in Loop: Header=BB27_143 Depth=1
	global_load_dwordx2 v[18:19], v33, s[2:3] offset:32 sc0 sc1
	global_load_dwordx2 v[6:7], v33, s[2:3] offset:40
	v_mov_b32_e32 v16, s12
	v_mov_b32_e32 v17, s13
	s_waitcnt vmcnt(0)
	v_readfirstlane_b32 s16, v6
	v_readfirstlane_b32 s17, v7
	s_and_b64 s[16:17], s[16:17], s[12:13]
	s_mul_i32 s17, s17, 24
	s_mul_hi_u32 s18, s16, 24
	s_mul_i32 s16, s16, 24
	s_add_i32 s17, s18, s17
	v_lshl_add_u64 v[14:15], v[26:27], 0, s[16:17]
	global_store_dwordx2 v[14:15], v[18:19], off
	buffer_wbl2 sc0 sc1
	s_waitcnt vmcnt(0)
	global_atomic_cmpswap_x2 v[8:9], v33, v[16:19], s[2:3] offset:32 sc0 sc1
	s_waitcnt vmcnt(0)
	v_cmp_ne_u64_e32 vcc, v[8:9], v[18:19]
	s_and_saveexec_b64 s[16:17], vcc
	s_cbranch_execz .LBB27_211
; %bb.209:                              ;   in Loop: Header=BB27_143 Depth=1
	s_mov_b64 s[18:19], 0
.LBB27_210:                             ;   Parent Loop BB27_143 Depth=1
                                        ; =>  This Inner Loop Header: Depth=2
	s_sleep 1
	global_store_dwordx2 v[14:15], v[8:9], off
	v_mov_b32_e32 v6, s12
	v_mov_b32_e32 v7, s13
	buffer_wbl2 sc0 sc1
	s_waitcnt vmcnt(0)
	global_atomic_cmpswap_x2 v[6:7], v33, v[6:9], s[2:3] offset:32 sc0 sc1
	s_waitcnt vmcnt(0)
	v_cmp_eq_u64_e32 vcc, v[6:7], v[8:9]
	s_or_b64 s[18:19], vcc, s[18:19]
	v_mov_b64_e32 v[8:9], v[6:7]
	s_andn2_b64 exec, exec, s[18:19]
	s_cbranch_execnz .LBB27_210
.LBB27_211:                             ;   in Loop: Header=BB27_143 Depth=1
	s_or_b64 exec, exec, s[16:17]
	global_load_dwordx2 v[6:7], v33, s[2:3] offset:16
	s_mov_b64 s[18:19], exec
	v_mbcnt_lo_u32_b32 v3, s18, 0
	v_mbcnt_hi_u32_b32 v3, s19, v3
	v_cmp_eq_u32_e32 vcc, 0, v3
	s_and_saveexec_b64 s[16:17], vcc
	s_cbranch_execz .LBB27_213
; %bb.212:                              ;   in Loop: Header=BB27_143 Depth=1
	s_bcnt1_i32_b64 s18, s[18:19]
	v_mov_b32_e32 v32, s18
	buffer_wbl2 sc0 sc1
	s_waitcnt vmcnt(0)
	global_atomic_add_x2 v[6:7], v[32:33], off offset:8 sc1
.LBB27_213:                             ;   in Loop: Header=BB27_143 Depth=1
	s_or_b64 exec, exec, s[16:17]
	s_waitcnt vmcnt(0)
	global_load_dwordx2 v[8:9], v[6:7], off offset:16
	s_waitcnt vmcnt(0)
	v_cmp_eq_u64_e32 vcc, 0, v[8:9]
	s_cbranch_vccnz .LBB27_215
; %bb.214:                              ;   in Loop: Header=BB27_143 Depth=1
	global_load_dword v32, v[6:7], off offset:24
	s_waitcnt vmcnt(0)
	v_readfirstlane_b32 s16, v32
	s_and_b32 m0, s16, 0xffffff
	buffer_wbl2 sc0 sc1
	global_store_dwordx2 v[8:9], v[32:33], off sc0 sc1
	s_sendmsg sendmsg(MSG_INTERRUPT)
.LBB27_215:                             ;   in Loop: Header=BB27_143 Depth=1
	s_or_b64 exec, exec, s[14:15]
	v_mov_b32_e32 v31, v33
	v_lshl_add_u64 v[6:7], v[10:11], 0, v[30:31]
	s_branch .LBB27_219
.LBB27_216:                             ;   in Loop: Header=BB27_219 Depth=2
	s_or_b64 exec, exec, s[14:15]
	v_readfirstlane_b32 s14, v3
	s_cmp_eq_u32 s14, 0
	s_cbranch_scc1 .LBB27_218
; %bb.217:                              ;   in Loop: Header=BB27_219 Depth=2
	s_sleep 1
	s_cbranch_execnz .LBB27_219
	s_branch .LBB27_221
.LBB27_218:                             ;   in Loop: Header=BB27_143 Depth=1
	s_branch .LBB27_221
.LBB27_219:                             ;   Parent Loop BB27_143 Depth=1
                                        ; =>  This Inner Loop Header: Depth=2
	v_mov_b32_e32 v3, 1
	s_and_saveexec_b64 s[14:15], s[0:1]
	s_cbranch_execz .LBB27_216
; %bb.220:                              ;   in Loop: Header=BB27_219 Depth=2
	global_load_dword v3, v[34:35], off offset:20 sc0 sc1
	s_waitcnt vmcnt(0)
	buffer_inv sc0 sc1
	v_and_b32_e32 v3, 1, v3
	s_branch .LBB27_216
.LBB27_221:                             ;   in Loop: Header=BB27_143 Depth=1
	global_load_dwordx2 v[6:7], v[6:7], off
	s_and_saveexec_b64 s[14:15], s[0:1]
	s_cbranch_execz .LBB27_142
; %bb.222:                              ;   in Loop: Header=BB27_143 Depth=1
	global_load_dwordx2 v[8:9], v33, s[2:3] offset:40
	global_load_dwordx2 v[18:19], v33, s[2:3] offset:24 sc0 sc1
	global_load_dwordx2 v[10:11], v33, s[2:3]
	s_waitcnt vmcnt(2)
	v_readfirstlane_b32 s16, v8
	v_readfirstlane_b32 s17, v9
	s_add_u32 s18, s16, 1
	s_addc_u32 s19, s17, 0
	s_add_u32 s0, s18, s12
	s_addc_u32 s1, s19, s13
	s_cmp_eq_u64 s[0:1], 0
	s_cselect_b32 s1, s19, s1
	s_cselect_b32 s0, s18, s0
	s_and_b64 s[12:13], s[0:1], s[16:17]
	s_mul_i32 s13, s13, 24
	s_mul_hi_u32 s16, s12, 24
	s_mul_i32 s12, s12, 24
	s_add_i32 s13, s16, s13
	s_waitcnt vmcnt(0)
	v_lshl_add_u64 v[14:15], v[10:11], 0, s[12:13]
	v_mov_b32_e32 v16, s0
	global_store_dwordx2 v[14:15], v[18:19], off
	v_mov_b32_e32 v17, s1
	buffer_wbl2 sc0 sc1
	s_waitcnt vmcnt(0)
	global_atomic_cmpswap_x2 v[10:11], v33, v[16:19], s[2:3] offset:24 sc0 sc1
	s_waitcnt vmcnt(0)
	v_cmp_ne_u64_e32 vcc, v[10:11], v[18:19]
	s_and_b64 exec, exec, vcc
	s_cbranch_execz .LBB27_142
; %bb.223:                              ;   in Loop: Header=BB27_143 Depth=1
	s_mov_b64 s[12:13], 0
.LBB27_224:                             ;   Parent Loop BB27_143 Depth=1
                                        ; =>  This Inner Loop Header: Depth=2
	s_sleep 1
	global_store_dwordx2 v[14:15], v[10:11], off
	v_mov_b32_e32 v8, s0
	v_mov_b32_e32 v9, s1
	buffer_wbl2 sc0 sc1
	s_waitcnt vmcnt(0)
	global_atomic_cmpswap_x2 v[8:9], v33, v[8:11], s[2:3] offset:24 sc0 sc1
	s_waitcnt vmcnt(0)
	v_cmp_eq_u64_e32 vcc, v[8:9], v[10:11]
	s_or_b64 s[12:13], vcc, s[12:13]
	v_mov_b64_e32 v[10:11], v[8:9]
	s_andn2_b64 exec, exec, s[12:13]
	s_cbranch_execnz .LBB27_224
	s_branch .LBB27_142
.LBB27_225:
                                        ; implicit-def: $vgpr6_vgpr7
	s_cbranch_execnz .LBB27_227
	s_branch .LBB27_253
.LBB27_226:
	s_branch .LBB27_253
.LBB27_227:
	v_readfirstlane_b32 s0, v38
	v_mov_b64_e32 v[2:3], 0
	s_nop 0
	v_cmp_eq_u32_e64 s[0:1], s0, v38
	s_and_saveexec_b64 s[4:5], s[0:1]
	s_cbranch_execz .LBB27_233
; %bb.228:
	s_waitcnt vmcnt(0)
	v_mov_b32_e32 v6, 0
	global_load_dwordx2 v[10:11], v6, s[2:3] offset:24 sc0 sc1
	s_waitcnt vmcnt(0)
	buffer_inv sc0 sc1
	global_load_dwordx2 v[2:3], v6, s[2:3] offset:40
	global_load_dwordx2 v[8:9], v6, s[2:3]
	s_waitcnt vmcnt(1)
	v_and_b32_e32 v2, v2, v10
	v_and_b32_e32 v3, v3, v11
	v_mul_lo_u32 v3, v3, 24
	v_mul_hi_u32 v7, v2, 24
	v_add_u32_e32 v3, v7, v3
	v_mul_lo_u32 v2, v2, 24
	s_waitcnt vmcnt(0)
	v_lshl_add_u64 v[2:3], v[8:9], 0, v[2:3]
	global_load_dwordx2 v[8:9], v[2:3], off sc0 sc1
	s_waitcnt vmcnt(0)
	global_atomic_cmpswap_x2 v[2:3], v6, v[8:11], s[2:3] offset:24 sc0 sc1
	s_waitcnt vmcnt(0)
	buffer_inv sc0 sc1
	v_cmp_ne_u64_e32 vcc, v[2:3], v[10:11]
	s_and_saveexec_b64 s[6:7], vcc
	s_cbranch_execz .LBB27_232
; %bb.229:
	s_mov_b64 s[10:11], 0
.LBB27_230:                             ; =>This Inner Loop Header: Depth=1
	s_sleep 1
	global_load_dwordx2 v[8:9], v6, s[2:3] offset:40
	global_load_dwordx2 v[12:13], v6, s[2:3]
	v_mov_b64_e32 v[10:11], v[2:3]
	s_waitcnt vmcnt(1)
	v_and_b32_e32 v2, v8, v10
	s_waitcnt vmcnt(0)
	v_mad_u64_u32 v[2:3], s[12:13], v2, 24, v[12:13]
	v_and_b32_e32 v7, v9, v11
	v_mov_b32_e32 v8, v3
	v_mad_u64_u32 v[8:9], s[12:13], v7, 24, v[8:9]
	v_mov_b32_e32 v3, v8
	global_load_dwordx2 v[8:9], v[2:3], off sc0 sc1
	s_waitcnt vmcnt(0)
	global_atomic_cmpswap_x2 v[2:3], v6, v[8:11], s[2:3] offset:24 sc0 sc1
	s_waitcnt vmcnt(0)
	buffer_inv sc0 sc1
	v_cmp_eq_u64_e32 vcc, v[2:3], v[10:11]
	s_or_b64 s[10:11], vcc, s[10:11]
	s_andn2_b64 exec, exec, s[10:11]
	s_cbranch_execnz .LBB27_230
; %bb.231:
	s_or_b64 exec, exec, s[10:11]
.LBB27_232:
	s_or_b64 exec, exec, s[6:7]
.LBB27_233:
	s_or_b64 exec, exec, s[4:5]
	v_mov_b32_e32 v31, 0
	global_load_dwordx2 v[10:11], v31, s[2:3] offset:40
	global_load_dwordx4 v[6:9], v31, s[2:3]
	v_readfirstlane_b32 s5, v3
	v_readfirstlane_b32 s4, v2
	s_mov_b64 s[6:7], exec
	s_waitcnt vmcnt(1)
	v_readfirstlane_b32 s10, v10
	v_readfirstlane_b32 s11, v11
	s_and_b64 s[10:11], s[10:11], s[4:5]
	s_mul_i32 s12, s11, 24
	s_mul_hi_u32 s13, s10, 24
	s_add_i32 s13, s13, s12
	s_mul_i32 s12, s10, 24
	s_waitcnt vmcnt(0)
	v_lshl_add_u64 v[10:11], v[6:7], 0, s[12:13]
	s_and_saveexec_b64 s[12:13], s[0:1]
	s_cbranch_execz .LBB27_235
; %bb.234:
	v_mov_b64_e32 v[12:13], s[6:7]
	v_mov_b32_e32 v14, 2
	v_mov_b32_e32 v15, 1
	global_store_dwordx4 v[10:11], v[12:15], off offset:8
.LBB27_235:
	s_or_b64 exec, exec, s[12:13]
	s_lshl_b64 s[6:7], s[10:11], 12
	v_lshl_add_u64 v[8:9], v[8:9], 0, s[6:7]
	s_movk_i32 s6, 0xff1f
	s_mov_b32 s12, 0
	v_and_or_b32 v0, v0, s6, 32
	v_mov_b32_e32 v2, v31
	v_mov_b32_e32 v3, v31
	v_readfirstlane_b32 s6, v8
	v_readfirstlane_b32 s7, v9
	s_mov_b32 s13, s12
	s_mov_b32 s14, s12
	;; [unrolled: 1-line block ×3, first 2 shown]
	s_nop 1
	global_store_dwordx4 v30, v[0:3], s[6:7]
	s_nop 1
	v_mov_b64_e32 v[0:1], s[12:13]
	v_mov_b64_e32 v[2:3], s[14:15]
	global_store_dwordx4 v30, v[0:3], s[6:7] offset:16
	global_store_dwordx4 v30, v[0:3], s[6:7] offset:32
	;; [unrolled: 1-line block ×3, first 2 shown]
	s_and_saveexec_b64 s[6:7], s[0:1]
	s_cbranch_execz .LBB27_243
; %bb.236:
	v_mov_b32_e32 v12, 0
	global_load_dwordx2 v[16:17], v12, s[2:3] offset:32 sc0 sc1
	global_load_dwordx2 v[0:1], v12, s[2:3] offset:40
	v_mov_b32_e32 v14, s4
	v_mov_b32_e32 v15, s5
	s_waitcnt vmcnt(0)
	v_readfirstlane_b32 s10, v0
	v_readfirstlane_b32 s11, v1
	s_and_b64 s[10:11], s[10:11], s[4:5]
	s_mul_i32 s11, s11, 24
	s_mul_hi_u32 s12, s10, 24
	s_mul_i32 s10, s10, 24
	s_add_i32 s11, s12, s11
	v_lshl_add_u64 v[6:7], v[6:7], 0, s[10:11]
	global_store_dwordx2 v[6:7], v[16:17], off
	buffer_wbl2 sc0 sc1
	s_waitcnt vmcnt(0)
	global_atomic_cmpswap_x2 v[2:3], v12, v[14:17], s[2:3] offset:32 sc0 sc1
	s_waitcnt vmcnt(0)
	v_cmp_ne_u64_e32 vcc, v[2:3], v[16:17]
	s_and_saveexec_b64 s[10:11], vcc
	s_cbranch_execz .LBB27_239
; %bb.237:
	s_mov_b64 s[12:13], 0
.LBB27_238:                             ; =>This Inner Loop Header: Depth=1
	s_sleep 1
	global_store_dwordx2 v[6:7], v[2:3], off
	v_mov_b32_e32 v0, s4
	v_mov_b32_e32 v1, s5
	buffer_wbl2 sc0 sc1
	s_waitcnt vmcnt(0)
	global_atomic_cmpswap_x2 v[0:1], v12, v[0:3], s[2:3] offset:32 sc0 sc1
	s_waitcnt vmcnt(0)
	v_cmp_eq_u64_e32 vcc, v[0:1], v[2:3]
	s_or_b64 s[12:13], vcc, s[12:13]
	v_mov_b64_e32 v[2:3], v[0:1]
	s_andn2_b64 exec, exec, s[12:13]
	s_cbranch_execnz .LBB27_238
.LBB27_239:
	s_or_b64 exec, exec, s[10:11]
	v_mov_b32_e32 v3, 0
	global_load_dwordx2 v[0:1], v3, s[2:3] offset:16
	s_mov_b64 s[10:11], exec
	v_mbcnt_lo_u32_b32 v2, s10, 0
	v_mbcnt_hi_u32_b32 v2, s11, v2
	v_cmp_eq_u32_e32 vcc, 0, v2
	s_and_saveexec_b64 s[12:13], vcc
	s_cbranch_execz .LBB27_241
; %bb.240:
	s_bcnt1_i32_b64 s10, s[10:11]
	v_mov_b32_e32 v2, s10
	buffer_wbl2 sc0 sc1
	s_waitcnt vmcnt(0)
	global_atomic_add_x2 v[0:1], v[2:3], off offset:8 sc1
.LBB27_241:
	s_or_b64 exec, exec, s[12:13]
	s_waitcnt vmcnt(0)
	global_load_dwordx2 v[2:3], v[0:1], off offset:16
	s_waitcnt vmcnt(0)
	v_cmp_eq_u64_e32 vcc, 0, v[2:3]
	s_cbranch_vccnz .LBB27_243
; %bb.242:
	global_load_dword v0, v[0:1], off offset:24
	v_mov_b32_e32 v1, 0
	s_waitcnt vmcnt(0)
	v_readfirstlane_b32 s10, v0
	s_and_b32 m0, s10, 0xffffff
	buffer_wbl2 sc0 sc1
	global_store_dwordx2 v[2:3], v[0:1], off sc0 sc1
	s_sendmsg sendmsg(MSG_INTERRUPT)
.LBB27_243:
	s_or_b64 exec, exec, s[6:7]
	v_lshl_add_u64 v[0:1], v[8:9], 0, v[30:31]
	s_branch .LBB27_247
.LBB27_244:                             ;   in Loop: Header=BB27_247 Depth=1
	s_or_b64 exec, exec, s[6:7]
	v_readfirstlane_b32 s6, v2
	s_cmp_eq_u32 s6, 0
	s_cbranch_scc1 .LBB27_246
; %bb.245:                              ;   in Loop: Header=BB27_247 Depth=1
	s_sleep 1
	s_cbranch_execnz .LBB27_247
	s_branch .LBB27_249
.LBB27_246:
	s_branch .LBB27_249
.LBB27_247:                             ; =>This Inner Loop Header: Depth=1
	v_mov_b32_e32 v2, 1
	s_and_saveexec_b64 s[6:7], s[0:1]
	s_cbranch_execz .LBB27_244
; %bb.248:                              ;   in Loop: Header=BB27_247 Depth=1
	global_load_dword v2, v[10:11], off offset:20 sc0 sc1
	s_waitcnt vmcnt(0)
	buffer_inv sc0 sc1
	v_and_b32_e32 v2, 1, v2
	s_branch .LBB27_244
.LBB27_249:
	global_load_dwordx2 v[6:7], v[0:1], off
	s_and_saveexec_b64 s[6:7], s[0:1]
	s_cbranch_execz .LBB27_252
; %bb.250:
	v_mov_b32_e32 v10, 0
	global_load_dwordx2 v[0:1], v10, s[2:3] offset:40
	global_load_dwordx2 v[14:15], v10, s[2:3] offset:24 sc0 sc1
	global_load_dwordx2 v[2:3], v10, s[2:3]
	s_waitcnt vmcnt(2)
	v_readfirstlane_b32 s10, v0
	v_readfirstlane_b32 s11, v1
	s_add_u32 s12, s10, 1
	s_addc_u32 s13, s11, 0
	s_add_u32 s0, s12, s4
	s_addc_u32 s1, s13, s5
	s_cmp_eq_u64 s[0:1], 0
	s_cselect_b32 s1, s13, s1
	s_cselect_b32 s0, s12, s0
	s_and_b64 s[4:5], s[0:1], s[10:11]
	s_mul_i32 s5, s5, 24
	s_mul_hi_u32 s10, s4, 24
	s_mul_i32 s4, s4, 24
	s_add_i32 s5, s10, s5
	s_waitcnt vmcnt(0)
	v_lshl_add_u64 v[8:9], v[2:3], 0, s[4:5]
	v_mov_b32_e32 v12, s0
	global_store_dwordx2 v[8:9], v[14:15], off
	v_mov_b32_e32 v13, s1
	buffer_wbl2 sc0 sc1
	s_waitcnt vmcnt(0)
	global_atomic_cmpswap_x2 v[2:3], v10, v[12:15], s[2:3] offset:24 sc0 sc1
	s_mov_b64 s[4:5], 0
	s_waitcnt vmcnt(0)
	v_cmp_ne_u64_e32 vcc, v[2:3], v[14:15]
	s_and_b64 exec, exec, vcc
	s_cbranch_execz .LBB27_252
.LBB27_251:                             ; =>This Inner Loop Header: Depth=1
	s_sleep 1
	global_store_dwordx2 v[8:9], v[2:3], off
	v_mov_b32_e32 v0, s0
	v_mov_b32_e32 v1, s1
	buffer_wbl2 sc0 sc1
	s_waitcnt vmcnt(0)
	global_atomic_cmpswap_x2 v[0:1], v10, v[0:3], s[2:3] offset:24 sc0 sc1
	s_waitcnt vmcnt(0)
	v_cmp_eq_u64_e32 vcc, v[0:1], v[2:3]
	s_or_b64 s[4:5], vcc, s[4:5]
	v_mov_b64_e32 v[2:3], v[0:1]
	s_andn2_b64 exec, exec, s[4:5]
	s_cbranch_execnz .LBB27_251
.LBB27_252:
	s_or_b64 exec, exec, s[6:7]
.LBB27_253:
	v_readfirstlane_b32 s0, v38
	v_mov_b64_e32 v[8:9], 0
	s_nop 0
	v_cmp_eq_u32_e64 s[0:1], s0, v38
	s_and_saveexec_b64 s[4:5], s[0:1]
	s_cbranch_execz .LBB27_259
; %bb.254:
	s_waitcnt vmcnt(0)
	v_mov_b32_e32 v0, 0
	global_load_dwordx2 v[10:11], v0, s[2:3] offset:24 sc0 sc1
	s_waitcnt vmcnt(0)
	buffer_inv sc0 sc1
	global_load_dwordx2 v[2:3], v0, s[2:3] offset:40
	global_load_dwordx2 v[8:9], v0, s[2:3]
	s_waitcnt vmcnt(1)
	v_and_b32_e32 v1, v2, v10
	v_and_b32_e32 v2, v3, v11
	v_mul_lo_u32 v2, v2, 24
	v_mul_hi_u32 v3, v1, 24
	v_add_u32_e32 v3, v3, v2
	v_mul_lo_u32 v2, v1, 24
	s_waitcnt vmcnt(0)
	v_lshl_add_u64 v[2:3], v[8:9], 0, v[2:3]
	global_load_dwordx2 v[8:9], v[2:3], off sc0 sc1
	s_waitcnt vmcnt(0)
	global_atomic_cmpswap_x2 v[8:9], v0, v[8:11], s[2:3] offset:24 sc0 sc1
	s_waitcnt vmcnt(0)
	buffer_inv sc0 sc1
	v_cmp_ne_u64_e32 vcc, v[8:9], v[10:11]
	s_and_saveexec_b64 s[6:7], vcc
	s_cbranch_execz .LBB27_258
; %bb.255:
	s_mov_b64 s[10:11], 0
.LBB27_256:                             ; =>This Inner Loop Header: Depth=1
	s_sleep 1
	global_load_dwordx2 v[2:3], v0, s[2:3] offset:40
	global_load_dwordx2 v[12:13], v0, s[2:3]
	v_mov_b64_e32 v[10:11], v[8:9]
	s_waitcnt vmcnt(1)
	v_and_b32_e32 v2, v2, v10
	v_and_b32_e32 v1, v3, v11
	s_waitcnt vmcnt(0)
	v_mad_u64_u32 v[2:3], s[12:13], v2, 24, v[12:13]
	v_mov_b32_e32 v8, v3
	v_mad_u64_u32 v[8:9], s[12:13], v1, 24, v[8:9]
	v_mov_b32_e32 v3, v8
	global_load_dwordx2 v[8:9], v[2:3], off sc0 sc1
	s_waitcnt vmcnt(0)
	global_atomic_cmpswap_x2 v[8:9], v0, v[8:11], s[2:3] offset:24 sc0 sc1
	s_waitcnt vmcnt(0)
	buffer_inv sc0 sc1
	v_cmp_eq_u64_e32 vcc, v[8:9], v[10:11]
	s_or_b64 s[10:11], vcc, s[10:11]
	s_andn2_b64 exec, exec, s[10:11]
	s_cbranch_execnz .LBB27_256
; %bb.257:
	s_or_b64 exec, exec, s[10:11]
.LBB27_258:
	s_or_b64 exec, exec, s[6:7]
.LBB27_259:
	s_or_b64 exec, exec, s[4:5]
	v_mov_b32_e32 v31, 0
	global_load_dwordx2 v[10:11], v31, s[2:3] offset:40
	global_load_dwordx4 v[0:3], v31, s[2:3]
	v_readfirstlane_b32 s5, v9
	v_readfirstlane_b32 s4, v8
	s_mov_b64 s[6:7], exec
	s_waitcnt vmcnt(1)
	v_readfirstlane_b32 s10, v10
	v_readfirstlane_b32 s11, v11
	s_and_b64 s[10:11], s[10:11], s[4:5]
	s_mul_i32 s12, s11, 24
	s_mul_hi_u32 s13, s10, 24
	s_add_i32 s13, s13, s12
	s_mul_i32 s12, s10, 24
	s_waitcnt vmcnt(0)
	v_lshl_add_u64 v[10:11], v[0:1], 0, s[12:13]
	s_and_saveexec_b64 s[12:13], s[0:1]
	s_cbranch_execz .LBB27_261
; %bb.260:
	v_mov_b64_e32 v[12:13], s[6:7]
	v_mov_b32_e32 v14, 2
	v_mov_b32_e32 v15, 1
	global_store_dwordx4 v[10:11], v[12:15], off offset:8
.LBB27_261:
	s_or_b64 exec, exec, s[12:13]
	s_lshl_b64 s[6:7], s[10:11], 12
	v_lshl_add_u64 v[12:13], v[2:3], 0, s[6:7]
	s_movk_i32 s6, 0xff1f
	s_mov_b32 s12, 0
	v_and_or_b32 v6, v6, s6, 32
	v_mov_b32_e32 v8, 0x27a
	v_mov_b32_e32 v9, v31
	v_readfirstlane_b32 s6, v12
	v_readfirstlane_b32 s7, v13
	s_mov_b32 s13, s12
	s_mov_b32 s14, s12
	;; [unrolled: 1-line block ×3, first 2 shown]
	s_nop 1
	global_store_dwordx4 v30, v[6:9], s[6:7]
	s_nop 1
	v_mov_b64_e32 v[6:7], s[12:13]
	v_mov_b64_e32 v[8:9], s[14:15]
	global_store_dwordx4 v30, v[6:9], s[6:7] offset:16
	global_store_dwordx4 v30, v[6:9], s[6:7] offset:32
	global_store_dwordx4 v30, v[6:9], s[6:7] offset:48
	s_and_saveexec_b64 s[6:7], s[0:1]
	s_cbranch_execz .LBB27_269
; %bb.262:
	v_mov_b32_e32 v8, 0
	global_load_dwordx2 v[16:17], v8, s[2:3] offset:32 sc0 sc1
	global_load_dwordx2 v[2:3], v8, s[2:3] offset:40
	v_mov_b32_e32 v14, s4
	v_mov_b32_e32 v15, s5
	s_waitcnt vmcnt(0)
	v_readfirstlane_b32 s10, v2
	v_readfirstlane_b32 s11, v3
	s_and_b64 s[10:11], s[10:11], s[4:5]
	s_mul_i32 s11, s11, 24
	s_mul_hi_u32 s12, s10, 24
	s_mul_i32 s10, s10, 24
	s_add_i32 s11, s12, s11
	v_lshl_add_u64 v[6:7], v[0:1], 0, s[10:11]
	global_store_dwordx2 v[6:7], v[16:17], off
	buffer_wbl2 sc0 sc1
	s_waitcnt vmcnt(0)
	global_atomic_cmpswap_x2 v[2:3], v8, v[14:17], s[2:3] offset:32 sc0 sc1
	s_waitcnt vmcnt(0)
	v_cmp_ne_u64_e32 vcc, v[2:3], v[16:17]
	s_and_saveexec_b64 s[10:11], vcc
	s_cbranch_execz .LBB27_265
; %bb.263:
	s_mov_b64 s[12:13], 0
.LBB27_264:                             ; =>This Inner Loop Header: Depth=1
	s_sleep 1
	global_store_dwordx2 v[6:7], v[2:3], off
	v_mov_b32_e32 v0, s4
	v_mov_b32_e32 v1, s5
	buffer_wbl2 sc0 sc1
	s_waitcnt vmcnt(0)
	global_atomic_cmpswap_x2 v[0:1], v8, v[0:3], s[2:3] offset:32 sc0 sc1
	s_waitcnt vmcnt(0)
	v_cmp_eq_u64_e32 vcc, v[0:1], v[2:3]
	s_or_b64 s[12:13], vcc, s[12:13]
	v_mov_b64_e32 v[2:3], v[0:1]
	s_andn2_b64 exec, exec, s[12:13]
	s_cbranch_execnz .LBB27_264
.LBB27_265:
	s_or_b64 exec, exec, s[10:11]
	v_mov_b32_e32 v3, 0
	global_load_dwordx2 v[0:1], v3, s[2:3] offset:16
	s_mov_b64 s[10:11], exec
	v_mbcnt_lo_u32_b32 v2, s10, 0
	v_mbcnt_hi_u32_b32 v2, s11, v2
	v_cmp_eq_u32_e32 vcc, 0, v2
	s_and_saveexec_b64 s[12:13], vcc
	s_cbranch_execz .LBB27_267
; %bb.266:
	s_bcnt1_i32_b64 s10, s[10:11]
	v_mov_b32_e32 v2, s10
	buffer_wbl2 sc0 sc1
	s_waitcnt vmcnt(0)
	global_atomic_add_x2 v[0:1], v[2:3], off offset:8 sc1
.LBB27_267:
	s_or_b64 exec, exec, s[12:13]
	s_waitcnt vmcnt(0)
	global_load_dwordx2 v[2:3], v[0:1], off offset:16
	s_waitcnt vmcnt(0)
	v_cmp_eq_u64_e32 vcc, 0, v[2:3]
	s_cbranch_vccnz .LBB27_269
; %bb.268:
	global_load_dword v0, v[0:1], off offset:24
	v_mov_b32_e32 v1, 0
	s_waitcnt vmcnt(0)
	v_readfirstlane_b32 s10, v0
	s_and_b32 m0, s10, 0xffffff
	buffer_wbl2 sc0 sc1
	global_store_dwordx2 v[2:3], v[0:1], off sc0 sc1
	s_sendmsg sendmsg(MSG_INTERRUPT)
.LBB27_269:
	s_or_b64 exec, exec, s[6:7]
	v_lshl_add_u64 v[0:1], v[12:13], 0, v[30:31]
	s_branch .LBB27_273
.LBB27_270:                             ;   in Loop: Header=BB27_273 Depth=1
	s_or_b64 exec, exec, s[6:7]
	v_readfirstlane_b32 s6, v2
	s_cmp_eq_u32 s6, 0
	s_cbranch_scc1 .LBB27_272
; %bb.271:                              ;   in Loop: Header=BB27_273 Depth=1
	s_sleep 1
	s_cbranch_execnz .LBB27_273
	s_branch .LBB27_275
.LBB27_272:
	s_branch .LBB27_275
.LBB27_273:                             ; =>This Inner Loop Header: Depth=1
	v_mov_b32_e32 v2, 1
	s_and_saveexec_b64 s[6:7], s[0:1]
	s_cbranch_execz .LBB27_270
; %bb.274:                              ;   in Loop: Header=BB27_273 Depth=1
	global_load_dword v2, v[10:11], off offset:20 sc0 sc1
	s_waitcnt vmcnt(0)
	buffer_inv sc0 sc1
	v_and_b32_e32 v2, 1, v2
	s_branch .LBB27_270
.LBB27_275:
	global_load_dwordx2 v[0:1], v[0:1], off
	s_and_saveexec_b64 s[6:7], s[0:1]
	s_cbranch_execz .LBB27_278
; %bb.276:
	v_mov_b32_e32 v10, 0
	global_load_dwordx2 v[2:3], v10, s[2:3] offset:40
	global_load_dwordx2 v[14:15], v10, s[2:3] offset:24 sc0 sc1
	global_load_dwordx2 v[6:7], v10, s[2:3]
	s_waitcnt vmcnt(2)
	v_readfirstlane_b32 s10, v2
	v_readfirstlane_b32 s11, v3
	s_add_u32 s12, s10, 1
	s_addc_u32 s13, s11, 0
	s_add_u32 s0, s12, s4
	s_addc_u32 s1, s13, s5
	s_cmp_eq_u64 s[0:1], 0
	s_cselect_b32 s1, s13, s1
	s_cselect_b32 s0, s12, s0
	s_and_b64 s[4:5], s[0:1], s[10:11]
	s_mul_i32 s5, s5, 24
	s_mul_hi_u32 s10, s4, 24
	s_mul_i32 s4, s4, 24
	s_add_i32 s5, s10, s5
	s_waitcnt vmcnt(0)
	v_lshl_add_u64 v[2:3], v[6:7], 0, s[4:5]
	v_mov_b32_e32 v12, s0
	global_store_dwordx2 v[2:3], v[14:15], off
	v_mov_b32_e32 v13, s1
	buffer_wbl2 sc0 sc1
	s_waitcnt vmcnt(0)
	global_atomic_cmpswap_x2 v[8:9], v10, v[12:15], s[2:3] offset:24 sc0 sc1
	s_mov_b64 s[4:5], 0
	s_waitcnt vmcnt(0)
	v_cmp_ne_u64_e32 vcc, v[8:9], v[14:15]
	s_and_b64 exec, exec, vcc
	s_cbranch_execz .LBB27_278
.LBB27_277:                             ; =>This Inner Loop Header: Depth=1
	s_sleep 1
	global_store_dwordx2 v[2:3], v[8:9], off
	v_mov_b32_e32 v6, s0
	v_mov_b32_e32 v7, s1
	buffer_wbl2 sc0 sc1
	s_waitcnt vmcnt(0)
	global_atomic_cmpswap_x2 v[6:7], v10, v[6:9], s[2:3] offset:24 sc0 sc1
	s_waitcnt vmcnt(0)
	v_cmp_eq_u64_e32 vcc, v[6:7], v[8:9]
	s_or_b64 s[4:5], vcc, s[4:5]
	v_mov_b64_e32 v[8:9], v[6:7]
	s_andn2_b64 exec, exec, s[4:5]
	s_cbranch_execnz .LBB27_277
.LBB27_278:
	s_or_b64 exec, exec, s[6:7]
	s_mov_b64 s[0:1], 0
	v_mov_b64_e32 v[2:3], v[4:5]
.LBB27_279:                             ; =>This Inner Loop Header: Depth=1
	global_load_ubyte v6, v[2:3], off
	v_lshl_add_u64 v[2:3], v[2:3], 0, 1
	s_waitcnt vmcnt(0)
	v_cmp_eq_u16_e32 vcc, 0, v6
	s_or_b64 s[0:1], vcc, s[0:1]
	s_andn2_b64 exec, exec, s[0:1]
	s_cbranch_execnz .LBB27_279
; %bb.280:
	s_or_b64 exec, exec, s[0:1]
	s_mov_b64 s[4:5], 0
	v_cmp_ne_u64_e32 vcc, 0, v[4:5]
	s_and_saveexec_b64 s[0:1], vcc
	s_xor_b64 s[6:7], exec, s[0:1]
	s_cbranch_execz .LBB27_366
; %bb.281:
	v_sub_u32_e32 v26, v2, v4
	v_ashrrev_i32_e32 v27, 31, v26
	v_and_b32_e32 v28, 2, v0
	v_mov_b32_e32 v31, 0
	v_and_b32_e32 v0, -3, v0
	s_mov_b32 s18, 0
	s_movk_i32 s19, 0x1e0
	v_mov_b32_e32 v8, 2
	v_mov_b32_e32 v9, 1
	s_branch .LBB27_283
.LBB27_282:                             ;   in Loop: Header=BB27_283 Depth=1
	s_or_b64 exec, exec, s[12:13]
	v_sub_co_u32_e32 v26, vcc, v26, v32
	v_lshl_add_u64 v[4:5], v[4:5], 0, v[32:33]
	s_nop 0
	v_subb_co_u32_e32 v27, vcc, v27, v33, vcc
	v_cmp_eq_u64_e32 vcc, 0, v[26:27]
	s_or_b64 s[4:5], vcc, s[4:5]
	s_andn2_b64 exec, exec, s[4:5]
	s_cbranch_execz .LBB27_365
.LBB27_283:                             ; =>This Loop Header: Depth=1
                                        ;     Child Loop BB27_286 Depth 2
                                        ;     Child Loop BB27_294 Depth 2
                                        ;     Child Loop BB27_302 Depth 2
                                        ;     Child Loop BB27_310 Depth 2
                                        ;     Child Loop BB27_318 Depth 2
                                        ;     Child Loop BB27_326 Depth 2
                                        ;     Child Loop BB27_334 Depth 2
                                        ;     Child Loop BB27_342 Depth 2
                                        ;     Child Loop BB27_350 Depth 2
                                        ;     Child Loop BB27_359 Depth 2
                                        ;     Child Loop BB27_364 Depth 2
	v_cmp_gt_u64_e32 vcc, 56, v[26:27]
	v_lshl_add_u64 v[12:13], v[4:5], 0, 8
	s_nop 0
	v_cndmask_b32_e32 v33, 0, v27, vcc
	v_cndmask_b32_e32 v32, 56, v26, vcc
	v_cmp_gt_u64_e32 vcc, 8, v[26:27]
	s_and_saveexec_b64 s[0:1], vcc
	s_xor_b64 s[0:1], exec, s[0:1]
	s_cbranch_execz .LBB27_289
; %bb.284:                              ;   in Loop: Header=BB27_283 Depth=1
	v_mov_b64_e32 v[2:3], 0
	v_cmp_ne_u64_e32 vcc, 0, v[26:27]
	s_and_saveexec_b64 s[10:11], vcc
	s_cbranch_execz .LBB27_288
; %bb.285:                              ;   in Loop: Header=BB27_283 Depth=1
	v_lshlrev_b64 v[6:7], 3, v[32:33]
	s_mov_b64 s[12:13], 0
	v_mov_b64_e32 v[2:3], 0
	v_mov_b64_e32 v[10:11], v[4:5]
	s_mov_b64 s[14:15], 0
.LBB27_286:                             ;   Parent Loop BB27_283 Depth=1
                                        ; =>  This Inner Loop Header: Depth=2
	global_load_ubyte v7, v[10:11], off
	v_mov_b32_e32 v13, s18
	v_lshl_add_u64 v[10:11], v[10:11], 0, 1
	s_waitcnt vmcnt(0)
	v_and_b32_e32 v12, 0xffff, v7
	v_lshlrev_b64 v[12:13], s14, v[12:13]
	s_add_u32 s14, s14, 8
	s_addc_u32 s15, s15, 0
	v_cmp_eq_u32_e32 vcc, s14, v6
	v_or_b32_e32 v3, v13, v3
	s_or_b64 s[12:13], vcc, s[12:13]
	v_or_b32_e32 v2, v12, v2
	s_andn2_b64 exec, exec, s[12:13]
	s_cbranch_execnz .LBB27_286
; %bb.287:                              ;   in Loop: Header=BB27_283 Depth=1
	s_or_b64 exec, exec, s[12:13]
.LBB27_288:                             ;   in Loop: Header=BB27_283 Depth=1
	s_or_b64 exec, exec, s[10:11]
	v_mov_b64_e32 v[12:13], v[4:5]
.LBB27_289:                             ;   in Loop: Header=BB27_283 Depth=1
	s_or_saveexec_b64 s[0:1], s[0:1]
	v_mov_b32_e32 v14, 0
	s_xor_b64 exec, exec, s[0:1]
	s_cbranch_execz .LBB27_291
; %bb.290:                              ;   in Loop: Header=BB27_283 Depth=1
	global_load_dwordx2 v[2:3], v[4:5], off
	v_add_u32_e32 v14, -8, v32
.LBB27_291:                             ;   in Loop: Header=BB27_283 Depth=1
	s_or_b64 exec, exec, s[0:1]
	v_cmp_gt_u32_e32 vcc, 8, v14
	v_lshl_add_u64 v[6:7], v[12:13], 0, 8
                                        ; implicit-def: $vgpr10_vgpr11
	s_and_saveexec_b64 s[0:1], vcc
	s_xor_b64 s[0:1], exec, s[0:1]
	s_cbranch_execz .LBB27_297
; %bb.292:                              ;   in Loop: Header=BB27_283 Depth=1
	v_cmp_ne_u32_e32 vcc, 0, v14
	v_mov_b64_e32 v[10:11], 0
	s_and_saveexec_b64 s[10:11], vcc
	s_cbranch_execz .LBB27_296
; %bb.293:                              ;   in Loop: Header=BB27_283 Depth=1
	s_mov_b64 s[12:13], 0
	v_mov_b64_e32 v[10:11], 0
	s_mov_b64 s[14:15], 0
	s_mov_b64 s[16:17], 0
.LBB27_294:                             ;   Parent Loop BB27_283 Depth=1
                                        ; =>  This Inner Loop Header: Depth=2
	v_lshl_add_u64 v[6:7], v[12:13], 0, s[16:17]
	global_load_ubyte v6, v[6:7], off
	s_add_u32 s16, s16, 1
	v_mov_b32_e32 v7, s18
	s_addc_u32 s17, s17, 0
	v_cmp_eq_u32_e32 vcc, s16, v14
	s_waitcnt vmcnt(0)
	v_and_b32_e32 v6, 0xffff, v6
	v_lshlrev_b64 v[6:7], s14, v[6:7]
	s_add_u32 s14, s14, 8
	s_addc_u32 s15, s15, 0
	v_or_b32_e32 v11, v7, v11
	s_or_b64 s[12:13], vcc, s[12:13]
	v_or_b32_e32 v10, v6, v10
	s_andn2_b64 exec, exec, s[12:13]
	s_cbranch_execnz .LBB27_294
; %bb.295:                              ;   in Loop: Header=BB27_283 Depth=1
	s_or_b64 exec, exec, s[12:13]
.LBB27_296:                             ;   in Loop: Header=BB27_283 Depth=1
	s_or_b64 exec, exec, s[10:11]
	v_mov_b64_e32 v[6:7], v[12:13]
                                        ; implicit-def: $vgpr14
.LBB27_297:                             ;   in Loop: Header=BB27_283 Depth=1
	s_or_saveexec_b64 s[0:1], s[0:1]
	v_mov_b32_e32 v15, 0
	s_xor_b64 exec, exec, s[0:1]
	s_cbranch_execz .LBB27_299
; %bb.298:                              ;   in Loop: Header=BB27_283 Depth=1
	global_load_dwordx2 v[10:11], v[12:13], off
	v_add_u32_e32 v15, -8, v14
.LBB27_299:                             ;   in Loop: Header=BB27_283 Depth=1
	s_or_b64 exec, exec, s[0:1]
	v_cmp_gt_u32_e32 vcc, 8, v15
	v_lshl_add_u64 v[16:17], v[6:7], 0, 8
	s_and_saveexec_b64 s[0:1], vcc
	s_xor_b64 s[0:1], exec, s[0:1]
	s_cbranch_execz .LBB27_305
; %bb.300:                              ;   in Loop: Header=BB27_283 Depth=1
	v_cmp_ne_u32_e32 vcc, 0, v15
	v_mov_b64_e32 v[12:13], 0
	s_and_saveexec_b64 s[10:11], vcc
	s_cbranch_execz .LBB27_304
; %bb.301:                              ;   in Loop: Header=BB27_283 Depth=1
	s_mov_b64 s[12:13], 0
	v_mov_b64_e32 v[12:13], 0
	s_mov_b64 s[14:15], 0
	s_mov_b64 s[16:17], 0
.LBB27_302:                             ;   Parent Loop BB27_283 Depth=1
                                        ; =>  This Inner Loop Header: Depth=2
	v_lshl_add_u64 v[16:17], v[6:7], 0, s[16:17]
	global_load_ubyte v14, v[16:17], off
	s_add_u32 s16, s16, 1
	v_mov_b32_e32 v17, s18
	s_addc_u32 s17, s17, 0
	v_cmp_eq_u32_e32 vcc, s16, v15
	s_waitcnt vmcnt(0)
	v_and_b32_e32 v16, 0xffff, v14
	v_lshlrev_b64 v[16:17], s14, v[16:17]
	s_add_u32 s14, s14, 8
	s_addc_u32 s15, s15, 0
	v_or_b32_e32 v13, v17, v13
	s_or_b64 s[12:13], vcc, s[12:13]
	v_or_b32_e32 v12, v16, v12
	s_andn2_b64 exec, exec, s[12:13]
	s_cbranch_execnz .LBB27_302
; %bb.303:                              ;   in Loop: Header=BB27_283 Depth=1
	s_or_b64 exec, exec, s[12:13]
.LBB27_304:                             ;   in Loop: Header=BB27_283 Depth=1
	s_or_b64 exec, exec, s[10:11]
	v_mov_b64_e32 v[16:17], v[6:7]
                                        ; implicit-def: $vgpr15
.LBB27_305:                             ;   in Loop: Header=BB27_283 Depth=1
	s_or_saveexec_b64 s[0:1], s[0:1]
	v_mov_b32_e32 v18, 0
	s_xor_b64 exec, exec, s[0:1]
	s_cbranch_execz .LBB27_307
; %bb.306:                              ;   in Loop: Header=BB27_283 Depth=1
	global_load_dwordx2 v[12:13], v[6:7], off
	v_add_u32_e32 v18, -8, v15
.LBB27_307:                             ;   in Loop: Header=BB27_283 Depth=1
	s_or_b64 exec, exec, s[0:1]
	v_cmp_gt_u32_e32 vcc, 8, v18
	v_lshl_add_u64 v[6:7], v[16:17], 0, 8
                                        ; implicit-def: $vgpr14_vgpr15
	s_and_saveexec_b64 s[0:1], vcc
	s_xor_b64 s[0:1], exec, s[0:1]
	s_cbranch_execz .LBB27_313
; %bb.308:                              ;   in Loop: Header=BB27_283 Depth=1
	v_cmp_ne_u32_e32 vcc, 0, v18
	v_mov_b64_e32 v[14:15], 0
	s_and_saveexec_b64 s[10:11], vcc
	s_cbranch_execz .LBB27_312
; %bb.309:                              ;   in Loop: Header=BB27_283 Depth=1
	s_mov_b64 s[12:13], 0
	v_mov_b64_e32 v[14:15], 0
	s_mov_b64 s[14:15], 0
	s_mov_b64 s[16:17], 0
.LBB27_310:                             ;   Parent Loop BB27_283 Depth=1
                                        ; =>  This Inner Loop Header: Depth=2
	v_lshl_add_u64 v[6:7], v[16:17], 0, s[16:17]
	global_load_ubyte v6, v[6:7], off
	s_add_u32 s16, s16, 1
	v_mov_b32_e32 v7, s18
	s_addc_u32 s17, s17, 0
	v_cmp_eq_u32_e32 vcc, s16, v18
	s_waitcnt vmcnt(0)
	v_and_b32_e32 v6, 0xffff, v6
	v_lshlrev_b64 v[6:7], s14, v[6:7]
	s_add_u32 s14, s14, 8
	s_addc_u32 s15, s15, 0
	v_or_b32_e32 v15, v7, v15
	s_or_b64 s[12:13], vcc, s[12:13]
	v_or_b32_e32 v14, v6, v14
	s_andn2_b64 exec, exec, s[12:13]
	s_cbranch_execnz .LBB27_310
; %bb.311:                              ;   in Loop: Header=BB27_283 Depth=1
	s_or_b64 exec, exec, s[12:13]
.LBB27_312:                             ;   in Loop: Header=BB27_283 Depth=1
	s_or_b64 exec, exec, s[10:11]
	v_mov_b64_e32 v[6:7], v[16:17]
                                        ; implicit-def: $vgpr18
.LBB27_313:                             ;   in Loop: Header=BB27_283 Depth=1
	s_or_saveexec_b64 s[0:1], s[0:1]
	v_mov_b32_e32 v19, 0
	s_xor_b64 exec, exec, s[0:1]
	s_cbranch_execz .LBB27_315
; %bb.314:                              ;   in Loop: Header=BB27_283 Depth=1
	global_load_dwordx2 v[14:15], v[16:17], off
	v_add_u32_e32 v19, -8, v18
.LBB27_315:                             ;   in Loop: Header=BB27_283 Depth=1
	s_or_b64 exec, exec, s[0:1]
	v_cmp_gt_u32_e32 vcc, 8, v19
	v_lshl_add_u64 v[20:21], v[6:7], 0, 8
	s_and_saveexec_b64 s[0:1], vcc
	s_xor_b64 s[0:1], exec, s[0:1]
	s_cbranch_execz .LBB27_321
; %bb.316:                              ;   in Loop: Header=BB27_283 Depth=1
	v_cmp_ne_u32_e32 vcc, 0, v19
	v_mov_b64_e32 v[16:17], 0
	s_and_saveexec_b64 s[10:11], vcc
	s_cbranch_execz .LBB27_320
; %bb.317:                              ;   in Loop: Header=BB27_283 Depth=1
	s_mov_b64 s[12:13], 0
	v_mov_b64_e32 v[16:17], 0
	s_mov_b64 s[14:15], 0
	s_mov_b64 s[16:17], 0
.LBB27_318:                             ;   Parent Loop BB27_283 Depth=1
                                        ; =>  This Inner Loop Header: Depth=2
	v_lshl_add_u64 v[20:21], v[6:7], 0, s[16:17]
	global_load_ubyte v18, v[20:21], off
	s_add_u32 s16, s16, 1
	v_mov_b32_e32 v21, s18
	s_addc_u32 s17, s17, 0
	v_cmp_eq_u32_e32 vcc, s16, v19
	s_waitcnt vmcnt(0)
	v_and_b32_e32 v20, 0xffff, v18
	v_lshlrev_b64 v[20:21], s14, v[20:21]
	s_add_u32 s14, s14, 8
	s_addc_u32 s15, s15, 0
	v_or_b32_e32 v17, v21, v17
	s_or_b64 s[12:13], vcc, s[12:13]
	v_or_b32_e32 v16, v20, v16
	s_andn2_b64 exec, exec, s[12:13]
	s_cbranch_execnz .LBB27_318
; %bb.319:                              ;   in Loop: Header=BB27_283 Depth=1
	s_or_b64 exec, exec, s[12:13]
.LBB27_320:                             ;   in Loop: Header=BB27_283 Depth=1
	s_or_b64 exec, exec, s[10:11]
	v_mov_b64_e32 v[20:21], v[6:7]
                                        ; implicit-def: $vgpr19
.LBB27_321:                             ;   in Loop: Header=BB27_283 Depth=1
	s_or_saveexec_b64 s[0:1], s[0:1]
	v_mov_b32_e32 v22, 0
	s_xor_b64 exec, exec, s[0:1]
	s_cbranch_execz .LBB27_323
; %bb.322:                              ;   in Loop: Header=BB27_283 Depth=1
	global_load_dwordx2 v[16:17], v[6:7], off
	v_add_u32_e32 v22, -8, v19
.LBB27_323:                             ;   in Loop: Header=BB27_283 Depth=1
	s_or_b64 exec, exec, s[0:1]
	v_cmp_gt_u32_e32 vcc, 8, v22
	v_lshl_add_u64 v[6:7], v[20:21], 0, 8
                                        ; implicit-def: $vgpr18_vgpr19
	s_and_saveexec_b64 s[0:1], vcc
	s_xor_b64 s[0:1], exec, s[0:1]
	s_cbranch_execz .LBB27_329
; %bb.324:                              ;   in Loop: Header=BB27_283 Depth=1
	v_cmp_ne_u32_e32 vcc, 0, v22
	v_mov_b64_e32 v[18:19], 0
	s_and_saveexec_b64 s[10:11], vcc
	s_cbranch_execz .LBB27_328
; %bb.325:                              ;   in Loop: Header=BB27_283 Depth=1
	s_mov_b64 s[12:13], 0
	v_mov_b64_e32 v[18:19], 0
	s_mov_b64 s[14:15], 0
	s_mov_b64 s[16:17], 0
.LBB27_326:                             ;   Parent Loop BB27_283 Depth=1
                                        ; =>  This Inner Loop Header: Depth=2
	v_lshl_add_u64 v[6:7], v[20:21], 0, s[16:17]
	global_load_ubyte v6, v[6:7], off
	s_add_u32 s16, s16, 1
	v_mov_b32_e32 v7, s18
	s_addc_u32 s17, s17, 0
	v_cmp_eq_u32_e32 vcc, s16, v22
	s_waitcnt vmcnt(0)
	v_and_b32_e32 v6, 0xffff, v6
	v_lshlrev_b64 v[6:7], s14, v[6:7]
	s_add_u32 s14, s14, 8
	s_addc_u32 s15, s15, 0
	v_or_b32_e32 v19, v7, v19
	s_or_b64 s[12:13], vcc, s[12:13]
	v_or_b32_e32 v18, v6, v18
	s_andn2_b64 exec, exec, s[12:13]
	s_cbranch_execnz .LBB27_326
; %bb.327:                              ;   in Loop: Header=BB27_283 Depth=1
	s_or_b64 exec, exec, s[12:13]
.LBB27_328:                             ;   in Loop: Header=BB27_283 Depth=1
	s_or_b64 exec, exec, s[10:11]
	v_mov_b64_e32 v[6:7], v[20:21]
                                        ; implicit-def: $vgpr22
.LBB27_329:                             ;   in Loop: Header=BB27_283 Depth=1
	s_or_saveexec_b64 s[0:1], s[0:1]
	v_mov_b32_e32 v23, 0
	s_xor_b64 exec, exec, s[0:1]
	s_cbranch_execz .LBB27_331
; %bb.330:                              ;   in Loop: Header=BB27_283 Depth=1
	global_load_dwordx2 v[18:19], v[20:21], off
	v_add_u32_e32 v23, -8, v22
.LBB27_331:                             ;   in Loop: Header=BB27_283 Depth=1
	s_or_b64 exec, exec, s[0:1]
	v_cmp_gt_u32_e32 vcc, 8, v23
	s_and_saveexec_b64 s[0:1], vcc
	s_xor_b64 s[0:1], exec, s[0:1]
	s_cbranch_execz .LBB27_337
; %bb.332:                              ;   in Loop: Header=BB27_283 Depth=1
	v_cmp_ne_u32_e32 vcc, 0, v23
	v_mov_b64_e32 v[20:21], 0
	s_and_saveexec_b64 s[10:11], vcc
	s_cbranch_execz .LBB27_336
; %bb.333:                              ;   in Loop: Header=BB27_283 Depth=1
	s_mov_b64 s[12:13], 0
	v_mov_b64_e32 v[20:21], 0
	s_mov_b64 s[14:15], 0
.LBB27_334:                             ;   Parent Loop BB27_283 Depth=1
                                        ; =>  This Inner Loop Header: Depth=2
	global_load_ubyte v22, v[6:7], off
	v_mov_b32_e32 v25, s18
	v_add_u32_e32 v23, -1, v23
	v_cmp_eq_u32_e32 vcc, 0, v23
	v_lshl_add_u64 v[6:7], v[6:7], 0, 1
	s_waitcnt vmcnt(0)
	v_and_b32_e32 v24, 0xffff, v22
	v_lshlrev_b64 v[24:25], s14, v[24:25]
	s_add_u32 s14, s14, 8
	s_addc_u32 s15, s15, 0
	v_or_b32_e32 v21, v25, v21
	s_or_b64 s[12:13], vcc, s[12:13]
	v_or_b32_e32 v20, v24, v20
	s_andn2_b64 exec, exec, s[12:13]
	s_cbranch_execnz .LBB27_334
; %bb.335:                              ;   in Loop: Header=BB27_283 Depth=1
	s_or_b64 exec, exec, s[12:13]
.LBB27_336:                             ;   in Loop: Header=BB27_283 Depth=1
	s_or_b64 exec, exec, s[10:11]
                                        ; implicit-def: $vgpr6_vgpr7
.LBB27_337:                             ;   in Loop: Header=BB27_283 Depth=1
	s_andn2_saveexec_b64 s[0:1], s[0:1]
	s_cbranch_execz .LBB27_339
; %bb.338:                              ;   in Loop: Header=BB27_283 Depth=1
	global_load_dwordx2 v[20:21], v[6:7], off
.LBB27_339:                             ;   in Loop: Header=BB27_283 Depth=1
	s_or_b64 exec, exec, s[0:1]
	v_readfirstlane_b32 s0, v38
	v_mov_b64_e32 v[6:7], 0
	s_nop 0
	v_cmp_eq_u32_e64 s[0:1], s0, v38
	s_and_saveexec_b64 s[10:11], s[0:1]
	s_cbranch_execz .LBB27_345
; %bb.340:                              ;   in Loop: Header=BB27_283 Depth=1
	global_load_dwordx2 v[24:25], v31, s[2:3] offset:24 sc0 sc1
	s_waitcnt vmcnt(0)
	buffer_inv sc0 sc1
	global_load_dwordx2 v[6:7], v31, s[2:3] offset:40
	global_load_dwordx2 v[22:23], v31, s[2:3]
	s_waitcnt vmcnt(1)
	v_and_b32_e32 v6, v6, v24
	v_and_b32_e32 v7, v7, v25
	v_mul_lo_u32 v7, v7, 24
	v_mul_hi_u32 v29, v6, 24
	v_add_u32_e32 v7, v29, v7
	v_mul_lo_u32 v6, v6, 24
	s_waitcnt vmcnt(0)
	v_lshl_add_u64 v[6:7], v[22:23], 0, v[6:7]
	global_load_dwordx2 v[22:23], v[6:7], off sc0 sc1
	s_waitcnt vmcnt(0)
	global_atomic_cmpswap_x2 v[6:7], v31, v[22:25], s[2:3] offset:24 sc0 sc1
	s_waitcnt vmcnt(0)
	buffer_inv sc0 sc1
	v_cmp_ne_u64_e32 vcc, v[6:7], v[24:25]
	s_and_saveexec_b64 s[12:13], vcc
	s_cbranch_execz .LBB27_344
; %bb.341:                              ;   in Loop: Header=BB27_283 Depth=1
	s_mov_b64 s[14:15], 0
.LBB27_342:                             ;   Parent Loop BB27_283 Depth=1
                                        ; =>  This Inner Loop Header: Depth=2
	s_sleep 1
	global_load_dwordx2 v[22:23], v31, s[2:3] offset:40
	global_load_dwordx2 v[34:35], v31, s[2:3]
	v_mov_b64_e32 v[24:25], v[6:7]
	s_waitcnt vmcnt(1)
	v_and_b32_e32 v6, v22, v24
	s_waitcnt vmcnt(0)
	v_mad_u64_u32 v[6:7], s[16:17], v6, 24, v[34:35]
	v_and_b32_e32 v23, v23, v25
	v_mov_b32_e32 v22, v7
	v_mad_u64_u32 v[22:23], s[16:17], v23, 24, v[22:23]
	v_mov_b32_e32 v7, v22
	global_load_dwordx2 v[22:23], v[6:7], off sc0 sc1
	s_waitcnt vmcnt(0)
	global_atomic_cmpswap_x2 v[6:7], v31, v[22:25], s[2:3] offset:24 sc0 sc1
	s_waitcnt vmcnt(0)
	buffer_inv sc0 sc1
	v_cmp_eq_u64_e32 vcc, v[6:7], v[24:25]
	s_or_b64 s[14:15], vcc, s[14:15]
	s_andn2_b64 exec, exec, s[14:15]
	s_cbranch_execnz .LBB27_342
; %bb.343:                              ;   in Loop: Header=BB27_283 Depth=1
	s_or_b64 exec, exec, s[14:15]
.LBB27_344:                             ;   in Loop: Header=BB27_283 Depth=1
	s_or_b64 exec, exec, s[12:13]
.LBB27_345:                             ;   in Loop: Header=BB27_283 Depth=1
	s_or_b64 exec, exec, s[10:11]
	global_load_dwordx2 v[34:35], v31, s[2:3] offset:40
	global_load_dwordx4 v[22:25], v31, s[2:3]
	v_readfirstlane_b32 s11, v7
	v_readfirstlane_b32 s10, v6
	s_mov_b64 s[12:13], exec
	s_waitcnt vmcnt(1)
	v_readfirstlane_b32 s14, v34
	v_readfirstlane_b32 s15, v35
	s_and_b64 s[14:15], s[14:15], s[10:11]
	s_mul_i32 s16, s15, 24
	s_mul_hi_u32 s17, s14, 24
	s_add_i32 s17, s17, s16
	s_mul_i32 s16, s14, 24
	s_waitcnt vmcnt(0)
	v_lshl_add_u64 v[34:35], v[22:23], 0, s[16:17]
	s_and_saveexec_b64 s[16:17], s[0:1]
	s_cbranch_execz .LBB27_347
; %bb.346:                              ;   in Loop: Header=BB27_283 Depth=1
	v_mov_b64_e32 v[6:7], s[12:13]
	global_store_dwordx4 v[34:35], v[6:9], off offset:8
.LBB27_347:                             ;   in Loop: Header=BB27_283 Depth=1
	s_or_b64 exec, exec, s[16:17]
	s_lshl_b64 s[12:13], s[14:15], 12
	v_cmp_gt_u64_e32 vcc, 57, v[26:27]
	v_lshl_add_u64 v[6:7], v[24:25], 0, s[12:13]
	v_and_b32_e32 v0, 0xffffff1f, v0
	v_cndmask_b32_e32 v24, 0, v28, vcc
	v_lshl_add_u32 v25, v32, 2, 28
	v_or_b32_e32 v0, v0, v24
	v_and_or_b32 v0, v25, s19, v0
	v_readfirstlane_b32 s12, v6
	v_readfirstlane_b32 s13, v7
	s_nop 4
	global_store_dwordx4 v30, v[0:3], s[12:13]
	global_store_dwordx4 v30, v[10:13], s[12:13] offset:16
	global_store_dwordx4 v30, v[14:17], s[12:13] offset:32
	;; [unrolled: 1-line block ×3, first 2 shown]
	s_and_saveexec_b64 s[12:13], s[0:1]
	s_cbranch_execz .LBB27_355
; %bb.348:                              ;   in Loop: Header=BB27_283 Depth=1
	global_load_dwordx2 v[14:15], v31, s[2:3] offset:32 sc0 sc1
	global_load_dwordx2 v[0:1], v31, s[2:3] offset:40
	v_mov_b32_e32 v12, s10
	v_mov_b32_e32 v13, s11
	s_waitcnt vmcnt(0)
	v_readfirstlane_b32 s14, v0
	v_readfirstlane_b32 s15, v1
	s_and_b64 s[14:15], s[14:15], s[10:11]
	s_mul_i32 s15, s15, 24
	s_mul_hi_u32 s16, s14, 24
	s_mul_i32 s14, s14, 24
	s_add_i32 s15, s16, s15
	v_lshl_add_u64 v[10:11], v[22:23], 0, s[14:15]
	global_store_dwordx2 v[10:11], v[14:15], off
	buffer_wbl2 sc0 sc1
	s_waitcnt vmcnt(0)
	global_atomic_cmpswap_x2 v[2:3], v31, v[12:15], s[2:3] offset:32 sc0 sc1
	s_waitcnt vmcnt(0)
	v_cmp_ne_u64_e32 vcc, v[2:3], v[14:15]
	s_and_saveexec_b64 s[14:15], vcc
	s_cbranch_execz .LBB27_351
; %bb.349:                              ;   in Loop: Header=BB27_283 Depth=1
	s_mov_b64 s[16:17], 0
.LBB27_350:                             ;   Parent Loop BB27_283 Depth=1
                                        ; =>  This Inner Loop Header: Depth=2
	s_sleep 1
	global_store_dwordx2 v[10:11], v[2:3], off
	v_mov_b32_e32 v0, s10
	v_mov_b32_e32 v1, s11
	buffer_wbl2 sc0 sc1
	s_waitcnt vmcnt(0)
	global_atomic_cmpswap_x2 v[0:1], v31, v[0:3], s[2:3] offset:32 sc0 sc1
	s_waitcnt vmcnt(0)
	v_cmp_eq_u64_e32 vcc, v[0:1], v[2:3]
	s_or_b64 s[16:17], vcc, s[16:17]
	v_mov_b64_e32 v[2:3], v[0:1]
	s_andn2_b64 exec, exec, s[16:17]
	s_cbranch_execnz .LBB27_350
.LBB27_351:                             ;   in Loop: Header=BB27_283 Depth=1
	s_or_b64 exec, exec, s[14:15]
	global_load_dwordx2 v[0:1], v31, s[2:3] offset:16
	s_mov_b64 s[16:17], exec
	v_mbcnt_lo_u32_b32 v2, s16, 0
	v_mbcnt_hi_u32_b32 v2, s17, v2
	v_cmp_eq_u32_e32 vcc, 0, v2
	s_and_saveexec_b64 s[14:15], vcc
	s_cbranch_execz .LBB27_353
; %bb.352:                              ;   in Loop: Header=BB27_283 Depth=1
	s_bcnt1_i32_b64 s16, s[16:17]
	v_mov_b32_e32 v2, s16
	v_mov_b32_e32 v3, v31
	buffer_wbl2 sc0 sc1
	s_waitcnt vmcnt(0)
	global_atomic_add_x2 v[0:1], v[2:3], off offset:8 sc1
.LBB27_353:                             ;   in Loop: Header=BB27_283 Depth=1
	s_or_b64 exec, exec, s[14:15]
	s_waitcnt vmcnt(0)
	global_load_dwordx2 v[2:3], v[0:1], off offset:16
	s_waitcnt vmcnt(0)
	v_cmp_eq_u64_e32 vcc, 0, v[2:3]
	s_cbranch_vccnz .LBB27_355
; %bb.354:                              ;   in Loop: Header=BB27_283 Depth=1
	global_load_dword v0, v[0:1], off offset:24
	v_mov_b32_e32 v1, v31
	s_waitcnt vmcnt(0)
	v_readfirstlane_b32 s14, v0
	s_and_b32 m0, s14, 0xffffff
	buffer_wbl2 sc0 sc1
	global_store_dwordx2 v[2:3], v[0:1], off sc0 sc1
	s_sendmsg sendmsg(MSG_INTERRUPT)
.LBB27_355:                             ;   in Loop: Header=BB27_283 Depth=1
	s_or_b64 exec, exec, s[12:13]
	v_lshl_add_u64 v[0:1], v[6:7], 0, v[30:31]
	s_branch .LBB27_359
.LBB27_356:                             ;   in Loop: Header=BB27_359 Depth=2
	s_or_b64 exec, exec, s[12:13]
	v_readfirstlane_b32 s12, v2
	s_cmp_eq_u32 s12, 0
	s_cbranch_scc1 .LBB27_358
; %bb.357:                              ;   in Loop: Header=BB27_359 Depth=2
	s_sleep 1
	s_cbranch_execnz .LBB27_359
	s_branch .LBB27_361
.LBB27_358:                             ;   in Loop: Header=BB27_283 Depth=1
	s_branch .LBB27_361
.LBB27_359:                             ;   Parent Loop BB27_283 Depth=1
                                        ; =>  This Inner Loop Header: Depth=2
	v_mov_b32_e32 v2, 1
	s_and_saveexec_b64 s[12:13], s[0:1]
	s_cbranch_execz .LBB27_356
; %bb.360:                              ;   in Loop: Header=BB27_359 Depth=2
	global_load_dword v2, v[34:35], off offset:20 sc0 sc1
	s_waitcnt vmcnt(0)
	buffer_inv sc0 sc1
	v_and_b32_e32 v2, 1, v2
	s_branch .LBB27_356
.LBB27_361:                             ;   in Loop: Header=BB27_283 Depth=1
	global_load_dwordx2 v[0:1], v[0:1], off
	s_and_saveexec_b64 s[12:13], s[0:1]
	s_cbranch_execz .LBB27_282
; %bb.362:                              ;   in Loop: Header=BB27_283 Depth=1
	global_load_dwordx2 v[2:3], v31, s[2:3] offset:40
	global_load_dwordx2 v[14:15], v31, s[2:3] offset:24 sc0 sc1
	global_load_dwordx2 v[6:7], v31, s[2:3]
	s_waitcnt vmcnt(2)
	v_readfirstlane_b32 s14, v2
	v_readfirstlane_b32 s15, v3
	s_add_u32 s16, s14, 1
	s_addc_u32 s17, s15, 0
	s_add_u32 s0, s16, s10
	s_addc_u32 s1, s17, s11
	s_cmp_eq_u64 s[0:1], 0
	s_cselect_b32 s1, s17, s1
	s_cselect_b32 s0, s16, s0
	s_and_b64 s[10:11], s[0:1], s[14:15]
	s_mul_i32 s11, s11, 24
	s_mul_hi_u32 s14, s10, 24
	s_mul_i32 s10, s10, 24
	s_add_i32 s11, s14, s11
	s_waitcnt vmcnt(0)
	v_lshl_add_u64 v[2:3], v[6:7], 0, s[10:11]
	v_mov_b32_e32 v12, s0
	global_store_dwordx2 v[2:3], v[14:15], off
	v_mov_b32_e32 v13, s1
	buffer_wbl2 sc0 sc1
	s_waitcnt vmcnt(0)
	global_atomic_cmpswap_x2 v[12:13], v31, v[12:15], s[2:3] offset:24 sc0 sc1
	s_waitcnt vmcnt(0)
	v_cmp_ne_u64_e32 vcc, v[12:13], v[14:15]
	s_and_b64 exec, exec, vcc
	s_cbranch_execz .LBB27_282
; %bb.363:                              ;   in Loop: Header=BB27_283 Depth=1
	s_mov_b64 s[10:11], 0
.LBB27_364:                             ;   Parent Loop BB27_283 Depth=1
                                        ; =>  This Inner Loop Header: Depth=2
	s_sleep 1
	global_store_dwordx2 v[2:3], v[12:13], off
	v_mov_b32_e32 v10, s0
	v_mov_b32_e32 v11, s1
	buffer_wbl2 sc0 sc1
	s_waitcnt vmcnt(0)
	global_atomic_cmpswap_x2 v[6:7], v31, v[10:13], s[2:3] offset:24 sc0 sc1
	s_waitcnt vmcnt(0)
	v_cmp_eq_u64_e32 vcc, v[6:7], v[12:13]
	s_or_b64 s[10:11], vcc, s[10:11]
	v_mov_b64_e32 v[12:13], v[6:7]
	s_andn2_b64 exec, exec, s[10:11]
	s_cbranch_execnz .LBB27_364
	s_branch .LBB27_282
.LBB27_365:
	s_or_b64 exec, exec, s[4:5]
                                        ; implicit-def: $vgpr30
                                        ; implicit-def: $vgpr38
.LBB27_366:
	s_andn2_saveexec_b64 s[4:5], s[6:7]
	s_cbranch_execz .LBB27_393
; %bb.367:
	v_readfirstlane_b32 s0, v38
	v_mov_b64_e32 v[2:3], 0
	s_nop 0
	v_cmp_eq_u32_e64 s[0:1], s0, v38
	s_and_saveexec_b64 s[6:7], s[0:1]
	s_cbranch_execz .LBB27_373
; %bb.368:
	v_mov_b32_e32 v4, 0
	global_load_dwordx2 v[8:9], v4, s[2:3] offset:24 sc0 sc1
	s_waitcnt vmcnt(0)
	buffer_inv sc0 sc1
	global_load_dwordx2 v[2:3], v4, s[2:3] offset:40
	global_load_dwordx2 v[6:7], v4, s[2:3]
	s_waitcnt vmcnt(1)
	v_and_b32_e32 v2, v2, v8
	v_and_b32_e32 v3, v3, v9
	v_mul_lo_u32 v3, v3, 24
	v_mul_hi_u32 v5, v2, 24
	v_add_u32_e32 v3, v5, v3
	v_mul_lo_u32 v2, v2, 24
	s_waitcnt vmcnt(0)
	v_lshl_add_u64 v[2:3], v[6:7], 0, v[2:3]
	global_load_dwordx2 v[6:7], v[2:3], off sc0 sc1
	s_waitcnt vmcnt(0)
	global_atomic_cmpswap_x2 v[2:3], v4, v[6:9], s[2:3] offset:24 sc0 sc1
	s_waitcnt vmcnt(0)
	buffer_inv sc0 sc1
	v_cmp_ne_u64_e32 vcc, v[2:3], v[8:9]
	s_and_saveexec_b64 s[10:11], vcc
	s_cbranch_execz .LBB27_372
; %bb.369:
	s_mov_b64 s[12:13], 0
.LBB27_370:                             ; =>This Inner Loop Header: Depth=1
	s_sleep 1
	global_load_dwordx2 v[6:7], v4, s[2:3] offset:40
	global_load_dwordx2 v[10:11], v4, s[2:3]
	v_mov_b64_e32 v[8:9], v[2:3]
	s_waitcnt vmcnt(1)
	v_and_b32_e32 v2, v6, v8
	s_waitcnt vmcnt(0)
	v_mad_u64_u32 v[2:3], s[14:15], v2, 24, v[10:11]
	v_and_b32_e32 v5, v7, v9
	v_mov_b32_e32 v6, v3
	v_mad_u64_u32 v[6:7], s[14:15], v5, 24, v[6:7]
	v_mov_b32_e32 v3, v6
	global_load_dwordx2 v[6:7], v[2:3], off sc0 sc1
	s_waitcnt vmcnt(0)
	global_atomic_cmpswap_x2 v[2:3], v4, v[6:9], s[2:3] offset:24 sc0 sc1
	s_waitcnt vmcnt(0)
	buffer_inv sc0 sc1
	v_cmp_eq_u64_e32 vcc, v[2:3], v[8:9]
	s_or_b64 s[12:13], vcc, s[12:13]
	s_andn2_b64 exec, exec, s[12:13]
	s_cbranch_execnz .LBB27_370
; %bb.371:
	s_or_b64 exec, exec, s[12:13]
.LBB27_372:
	s_or_b64 exec, exec, s[10:11]
.LBB27_373:
	s_or_b64 exec, exec, s[6:7]
	v_mov_b32_e32 v31, 0
	global_load_dwordx2 v[8:9], v31, s[2:3] offset:40
	global_load_dwordx4 v[4:7], v31, s[2:3]
	v_readfirstlane_b32 s7, v3
	v_readfirstlane_b32 s6, v2
	s_mov_b64 s[10:11], exec
	s_waitcnt vmcnt(1)
	v_readfirstlane_b32 s12, v8
	v_readfirstlane_b32 s13, v9
	s_and_b64 s[12:13], s[12:13], s[6:7]
	s_mul_i32 s14, s13, 24
	s_mul_hi_u32 s15, s12, 24
	s_add_i32 s15, s15, s14
	s_mul_i32 s14, s12, 24
	s_waitcnt vmcnt(0)
	v_lshl_add_u64 v[8:9], v[4:5], 0, s[14:15]
	s_and_saveexec_b64 s[14:15], s[0:1]
	s_cbranch_execz .LBB27_375
; %bb.374:
	v_mov_b64_e32 v[10:11], s[10:11]
	v_mov_b32_e32 v12, 2
	v_mov_b32_e32 v13, 1
	global_store_dwordx4 v[8:9], v[10:13], off offset:8
.LBB27_375:
	s_or_b64 exec, exec, s[14:15]
	s_lshl_b64 s[10:11], s[12:13], 12
	v_lshl_add_u64 v[6:7], v[6:7], 0, s[10:11]
	s_movk_i32 s10, 0xff1f
	s_mov_b32 s12, 0
	v_and_or_b32 v0, v0, s10, 32
	v_mov_b32_e32 v2, v31
	v_mov_b32_e32 v3, v31
	v_readfirstlane_b32 s10, v6
	v_readfirstlane_b32 s11, v7
	s_mov_b32 s13, s12
	s_mov_b32 s14, s12
	;; [unrolled: 1-line block ×3, first 2 shown]
	s_nop 1
	global_store_dwordx4 v30, v[0:3], s[10:11]
	s_nop 1
	v_mov_b64_e32 v[0:1], s[12:13]
	v_mov_b64_e32 v[2:3], s[14:15]
	global_store_dwordx4 v30, v[0:3], s[10:11] offset:16
	global_store_dwordx4 v30, v[0:3], s[10:11] offset:32
	;; [unrolled: 1-line block ×3, first 2 shown]
	s_and_saveexec_b64 s[10:11], s[0:1]
	s_cbranch_execz .LBB27_383
; %bb.376:
	v_mov_b32_e32 v10, 0
	global_load_dwordx2 v[14:15], v10, s[2:3] offset:32 sc0 sc1
	global_load_dwordx2 v[0:1], v10, s[2:3] offset:40
	v_mov_b32_e32 v12, s6
	v_mov_b32_e32 v13, s7
	s_waitcnt vmcnt(0)
	v_readfirstlane_b32 s12, v0
	v_readfirstlane_b32 s13, v1
	s_and_b64 s[12:13], s[12:13], s[6:7]
	s_mul_i32 s13, s13, 24
	s_mul_hi_u32 s14, s12, 24
	s_mul_i32 s12, s12, 24
	s_add_i32 s13, s14, s13
	v_lshl_add_u64 v[4:5], v[4:5], 0, s[12:13]
	global_store_dwordx2 v[4:5], v[14:15], off
	buffer_wbl2 sc0 sc1
	s_waitcnt vmcnt(0)
	global_atomic_cmpswap_x2 v[2:3], v10, v[12:15], s[2:3] offset:32 sc0 sc1
	s_waitcnt vmcnt(0)
	v_cmp_ne_u64_e32 vcc, v[2:3], v[14:15]
	s_and_saveexec_b64 s[12:13], vcc
	s_cbranch_execz .LBB27_379
; %bb.377:
	s_mov_b64 s[14:15], 0
.LBB27_378:                             ; =>This Inner Loop Header: Depth=1
	s_sleep 1
	global_store_dwordx2 v[4:5], v[2:3], off
	v_mov_b32_e32 v0, s6
	v_mov_b32_e32 v1, s7
	buffer_wbl2 sc0 sc1
	s_waitcnt vmcnt(0)
	global_atomic_cmpswap_x2 v[0:1], v10, v[0:3], s[2:3] offset:32 sc0 sc1
	s_waitcnt vmcnt(0)
	v_cmp_eq_u64_e32 vcc, v[0:1], v[2:3]
	s_or_b64 s[14:15], vcc, s[14:15]
	v_mov_b64_e32 v[2:3], v[0:1]
	s_andn2_b64 exec, exec, s[14:15]
	s_cbranch_execnz .LBB27_378
.LBB27_379:
	s_or_b64 exec, exec, s[12:13]
	v_mov_b32_e32 v3, 0
	global_load_dwordx2 v[0:1], v3, s[2:3] offset:16
	s_mov_b64 s[12:13], exec
	v_mbcnt_lo_u32_b32 v2, s12, 0
	v_mbcnt_hi_u32_b32 v2, s13, v2
	v_cmp_eq_u32_e32 vcc, 0, v2
	s_and_saveexec_b64 s[14:15], vcc
	s_cbranch_execz .LBB27_381
; %bb.380:
	s_bcnt1_i32_b64 s12, s[12:13]
	v_mov_b32_e32 v2, s12
	buffer_wbl2 sc0 sc1
	s_waitcnt vmcnt(0)
	global_atomic_add_x2 v[0:1], v[2:3], off offset:8 sc1
.LBB27_381:
	s_or_b64 exec, exec, s[14:15]
	s_waitcnt vmcnt(0)
	global_load_dwordx2 v[2:3], v[0:1], off offset:16
	s_waitcnt vmcnt(0)
	v_cmp_eq_u64_e32 vcc, 0, v[2:3]
	s_cbranch_vccnz .LBB27_383
; %bb.382:
	global_load_dword v0, v[0:1], off offset:24
	v_mov_b32_e32 v1, 0
	s_waitcnt vmcnt(0)
	v_readfirstlane_b32 s12, v0
	s_and_b32 m0, s12, 0xffffff
	buffer_wbl2 sc0 sc1
	global_store_dwordx2 v[2:3], v[0:1], off sc0 sc1
	s_sendmsg sendmsg(MSG_INTERRUPT)
.LBB27_383:
	s_or_b64 exec, exec, s[10:11]
	v_lshl_add_u64 v[0:1], v[6:7], 0, v[30:31]
	s_branch .LBB27_387
.LBB27_384:                             ;   in Loop: Header=BB27_387 Depth=1
	s_or_b64 exec, exec, s[10:11]
	v_readfirstlane_b32 s10, v2
	s_cmp_eq_u32 s10, 0
	s_cbranch_scc1 .LBB27_386
; %bb.385:                              ;   in Loop: Header=BB27_387 Depth=1
	s_sleep 1
	s_cbranch_execnz .LBB27_387
	s_branch .LBB27_389
.LBB27_386:
	s_branch .LBB27_389
.LBB27_387:                             ; =>This Inner Loop Header: Depth=1
	v_mov_b32_e32 v2, 1
	s_and_saveexec_b64 s[10:11], s[0:1]
	s_cbranch_execz .LBB27_384
; %bb.388:                              ;   in Loop: Header=BB27_387 Depth=1
	global_load_dword v2, v[8:9], off offset:20 sc0 sc1
	s_waitcnt vmcnt(0)
	buffer_inv sc0 sc1
	v_and_b32_e32 v2, 1, v2
	s_branch .LBB27_384
.LBB27_389:
	global_load_dwordx2 v[0:1], v[0:1], off
	s_and_saveexec_b64 s[10:11], s[0:1]
	s_cbranch_execz .LBB27_392
; %bb.390:
	v_mov_b32_e32 v8, 0
	global_load_dwordx2 v[2:3], v8, s[2:3] offset:40
	global_load_dwordx2 v[12:13], v8, s[2:3] offset:24 sc0 sc1
	global_load_dwordx2 v[4:5], v8, s[2:3]
	s_waitcnt vmcnt(2)
	v_readfirstlane_b32 s12, v2
	v_readfirstlane_b32 s13, v3
	s_add_u32 s14, s12, 1
	s_addc_u32 s15, s13, 0
	s_add_u32 s0, s14, s6
	s_addc_u32 s1, s15, s7
	s_cmp_eq_u64 s[0:1], 0
	s_cselect_b32 s1, s15, s1
	s_cselect_b32 s0, s14, s0
	s_and_b64 s[6:7], s[0:1], s[12:13]
	s_mul_i32 s7, s7, 24
	s_mul_hi_u32 s12, s6, 24
	s_mul_i32 s6, s6, 24
	s_add_i32 s7, s12, s7
	s_waitcnt vmcnt(0)
	v_lshl_add_u64 v[6:7], v[4:5], 0, s[6:7]
	v_mov_b32_e32 v10, s0
	global_store_dwordx2 v[6:7], v[12:13], off
	v_mov_b32_e32 v11, s1
	buffer_wbl2 sc0 sc1
	s_waitcnt vmcnt(0)
	global_atomic_cmpswap_x2 v[4:5], v8, v[10:13], s[2:3] offset:24 sc0 sc1
	s_mov_b64 s[6:7], 0
	s_waitcnt vmcnt(0)
	v_cmp_ne_u64_e32 vcc, v[4:5], v[12:13]
	s_and_b64 exec, exec, vcc
	s_cbranch_execz .LBB27_392
.LBB27_391:                             ; =>This Inner Loop Header: Depth=1
	s_sleep 1
	global_store_dwordx2 v[6:7], v[4:5], off
	v_mov_b32_e32 v2, s0
	v_mov_b32_e32 v3, s1
	buffer_wbl2 sc0 sc1
	s_waitcnt vmcnt(0)
	global_atomic_cmpswap_x2 v[2:3], v8, v[2:5], s[2:3] offset:24 sc0 sc1
	s_waitcnt vmcnt(0)
	v_cmp_eq_u64_e32 vcc, v[2:3], v[4:5]
	s_or_b64 s[6:7], vcc, s[6:7]
	v_mov_b64_e32 v[4:5], v[2:3]
	s_andn2_b64 exec, exec, s[6:7]
	s_cbranch_execnz .LBB27_391
.LBB27_392:
	s_or_b64 exec, exec, s[10:11]
.LBB27_393:
	s_or_b64 exec, exec, s[4:5]
	s_getpc_b64 s[0:1]
	s_add_u32 s0, s0, .str@rel32@lo+4
	s_addc_u32 s1, s1, .str@rel32@hi+12
	s_getpc_b64 s[2:3]
	s_add_u32 s2, s2, .str@rel32@lo+10
	s_addc_u32 s3, s3, .str@rel32@hi+18
	s_sub_i32 s4, s2, s0
	s_ashr_i32 s5, s4, 31
	s_getpc_b64 s[2:3]
	s_add_u32 s2, s2, __ockl_fprintf_append_string_n@rel32@lo+4
	s_addc_u32 s3, s3, __ockl_fprintf_append_string_n@rel32@hi+12
	v_mov_b32_e32 v2, s0
	v_mov_b32_e32 v3, s1
	;; [unrolled: 1-line block ×5, first 2 shown]
	s_swappc_b64 s[30:31], s[2:3]
	s_trap 2
.Lfunc_end27:
	.size	__assert_fail, .Lfunc_end27-__assert_fail
                                        ; -- End function
	.set .L__assert_fail.num_vgpr, max(41, .L__ockl_fprintf_append_string_n.num_vgpr)
	.set .L__assert_fail.num_agpr, max(0, .L__ockl_fprintf_append_string_n.num_agpr)
	.set .L__assert_fail.numbered_sgpr, max(34, .L__ockl_fprintf_append_string_n.numbered_sgpr)
	.set .L__assert_fail.num_named_barrier, max(0, .L__ockl_fprintf_append_string_n.num_named_barrier)
	.set .L__assert_fail.private_seg_size, 64+max(.L__ockl_fprintf_append_string_n.private_seg_size)
	.set .L__assert_fail.uses_vcc, or(1, .L__ockl_fprintf_append_string_n.uses_vcc)
	.set .L__assert_fail.uses_flat_scratch, or(0, .L__ockl_fprintf_append_string_n.uses_flat_scratch)
	.set .L__assert_fail.has_dyn_sized_stack, or(0, .L__ockl_fprintf_append_string_n.has_dyn_sized_stack)
	.set .L__assert_fail.has_recursion, or(0, .L__ockl_fprintf_append_string_n.has_recursion)
	.set .L__assert_fail.has_indirect_call, or(0, .L__ockl_fprintf_append_string_n.has_indirect_call)
	.section	.AMDGPU.csdata,"",@progbits
; Function info:
; codeLenInByte = 13480
; TotalNumSgprs: 40
; NumVgprs: 41
; NumAgprs: 0
; TotalNumVgprs: 41
; ScratchSize: 64
; MemoryBound: 0
	.section	.text._ZN4vllm18convert_fp8_kernelIhfLNS_18Fp8KVCacheDataTypeE0EEEvPKT0_PT_fl,"axG",@progbits,_ZN4vllm18convert_fp8_kernelIhfLNS_18Fp8KVCacheDataTypeE0EEEvPKT0_PT_fl,comdat
	.protected	_ZN4vllm18convert_fp8_kernelIhfLNS_18Fp8KVCacheDataTypeE0EEEvPKT0_PT_fl ; -- Begin function _ZN4vllm18convert_fp8_kernelIhfLNS_18Fp8KVCacheDataTypeE0EEEvPKT0_PT_fl
	.globl	_ZN4vllm18convert_fp8_kernelIhfLNS_18Fp8KVCacheDataTypeE0EEEvPKT0_PT_fl
	.p2align	8
	.type	_ZN4vllm18convert_fp8_kernelIhfLNS_18Fp8KVCacheDataTypeE0EEEvPKT0_PT_fl,@function
_ZN4vllm18convert_fp8_kernelIhfLNS_18Fp8KVCacheDataTypeE0EEEvPKT0_PT_fl: ; @_ZN4vllm18convert_fp8_kernelIhfLNS_18Fp8KVCacheDataTypeE0EEEvPKT0_PT_fl
; %bb.0:
	s_load_dwordx2 s[2:3], s[0:1], 0x18
	v_mov_b32_e32 v1, 0
	s_mov_b32 s32, 0
	s_waitcnt lgkmcnt(0)
	v_cmp_gt_i64_e32 vcc, s[2:3], v[0:1]
	s_and_saveexec_b64 s[2:3], vcc
	s_cbranch_execz .LBB28_2
; %bb.1:
	s_add_u32 s8, s0, 32
	s_addc_u32 s9, s1, 0
	s_getpc_b64 s[0:1]
	s_add_u32 s0, s0, __PRETTY_FUNCTION__._ZN4vllm3fp814scaled_convertIhfLNS_18Fp8KVCacheDataTypeE0EEET_RKT0_f@rel32@lo+4
	s_addc_u32 s1, s1, __PRETTY_FUNCTION__._ZN4vllm3fp814scaled_convertIhfLNS_18Fp8KVCacheDataTypeE0EEET_RKT0_f@rel32@hi+12
	s_getpc_b64 s[2:3]
	s_add_u32 s2, s2, __assert_fail@rel32@lo+4
	s_addc_u32 s3, s3, __assert_fail@rel32@hi+12
	v_mov_b32_e32 v0, s0
	v_mov_b32_e32 v1, s1
	s_swappc_b64 s[30:31], s[2:3]
	; divergent unreachable
.LBB28_2:
	s_endpgm
	.section	.rodata,"a",@progbits
	.p2align	6, 0x0
	.amdhsa_kernel _ZN4vllm18convert_fp8_kernelIhfLNS_18Fp8KVCacheDataTypeE0EEEvPKT0_PT_fl
		.amdhsa_group_segment_fixed_size 0
		.amdhsa_private_segment_fixed_size 64
		.amdhsa_kernarg_size 288
		.amdhsa_user_sgpr_count 2
		.amdhsa_user_sgpr_dispatch_ptr 0
		.amdhsa_user_sgpr_queue_ptr 0
		.amdhsa_user_sgpr_kernarg_segment_ptr 1
		.amdhsa_user_sgpr_dispatch_id 0
		.amdhsa_user_sgpr_kernarg_preload_length 0
		.amdhsa_user_sgpr_kernarg_preload_offset 0
		.amdhsa_user_sgpr_private_segment_size 0
		.amdhsa_uses_dynamic_stack 0
		.amdhsa_enable_private_segment 1
		.amdhsa_system_sgpr_workgroup_id_x 1
		.amdhsa_system_sgpr_workgroup_id_y 0
		.amdhsa_system_sgpr_workgroup_id_z 0
		.amdhsa_system_sgpr_workgroup_info 0
		.amdhsa_system_vgpr_workitem_id 0
		.amdhsa_next_free_vgpr 41
		.amdhsa_next_free_sgpr 34
		.amdhsa_accum_offset 44
		.amdhsa_reserve_vcc 1
		.amdhsa_float_round_mode_32 0
		.amdhsa_float_round_mode_16_64 0
		.amdhsa_float_denorm_mode_32 3
		.amdhsa_float_denorm_mode_16_64 3
		.amdhsa_dx10_clamp 1
		.amdhsa_ieee_mode 1
		.amdhsa_fp16_overflow 0
		.amdhsa_tg_split 0
		.amdhsa_exception_fp_ieee_invalid_op 0
		.amdhsa_exception_fp_denorm_src 0
		.amdhsa_exception_fp_ieee_div_zero 0
		.amdhsa_exception_fp_ieee_overflow 0
		.amdhsa_exception_fp_ieee_underflow 0
		.amdhsa_exception_fp_ieee_inexact 0
		.amdhsa_exception_int_div_zero 0
	.end_amdhsa_kernel
	.section	.text._ZN4vllm18convert_fp8_kernelIhfLNS_18Fp8KVCacheDataTypeE0EEEvPKT0_PT_fl,"axG",@progbits,_ZN4vllm18convert_fp8_kernelIhfLNS_18Fp8KVCacheDataTypeE0EEEvPKT0_PT_fl,comdat
.Lfunc_end28:
	.size	_ZN4vllm18convert_fp8_kernelIhfLNS_18Fp8KVCacheDataTypeE0EEEvPKT0_PT_fl, .Lfunc_end28-_ZN4vllm18convert_fp8_kernelIhfLNS_18Fp8KVCacheDataTypeE0EEEvPKT0_PT_fl
                                        ; -- End function
	.set _ZN4vllm18convert_fp8_kernelIhfLNS_18Fp8KVCacheDataTypeE0EEEvPKT0_PT_fl.num_vgpr, max(2, .L__assert_fail.num_vgpr)
	.set _ZN4vllm18convert_fp8_kernelIhfLNS_18Fp8KVCacheDataTypeE0EEEvPKT0_PT_fl.num_agpr, max(0, .L__assert_fail.num_agpr)
	.set _ZN4vllm18convert_fp8_kernelIhfLNS_18Fp8KVCacheDataTypeE0EEEvPKT0_PT_fl.numbered_sgpr, max(33, .L__assert_fail.numbered_sgpr)
	.set _ZN4vllm18convert_fp8_kernelIhfLNS_18Fp8KVCacheDataTypeE0EEEvPKT0_PT_fl.num_named_barrier, max(0, .L__assert_fail.num_named_barrier)
	.set _ZN4vllm18convert_fp8_kernelIhfLNS_18Fp8KVCacheDataTypeE0EEEvPKT0_PT_fl.private_seg_size, 0+max(.L__assert_fail.private_seg_size)
	.set _ZN4vllm18convert_fp8_kernelIhfLNS_18Fp8KVCacheDataTypeE0EEEvPKT0_PT_fl.uses_vcc, or(1, .L__assert_fail.uses_vcc)
	.set _ZN4vllm18convert_fp8_kernelIhfLNS_18Fp8KVCacheDataTypeE0EEEvPKT0_PT_fl.uses_flat_scratch, or(0, .L__assert_fail.uses_flat_scratch)
	.set _ZN4vllm18convert_fp8_kernelIhfLNS_18Fp8KVCacheDataTypeE0EEEvPKT0_PT_fl.has_dyn_sized_stack, or(0, .L__assert_fail.has_dyn_sized_stack)
	.set _ZN4vllm18convert_fp8_kernelIhfLNS_18Fp8KVCacheDataTypeE0EEEvPKT0_PT_fl.has_recursion, or(0, .L__assert_fail.has_recursion)
	.set _ZN4vllm18convert_fp8_kernelIhfLNS_18Fp8KVCacheDataTypeE0EEEvPKT0_PT_fl.has_indirect_call, or(0, .L__assert_fail.has_indirect_call)
	.section	.AMDGPU.csdata,"",@progbits
; Kernel info:
; codeLenInByte = 96
; TotalNumSgprs: 40
; NumVgprs: 41
; NumAgprs: 0
; TotalNumVgprs: 41
; ScratchSize: 64
; MemoryBound: 0
; FloatMode: 240
; IeeeMode: 1
; LDSByteSize: 0 bytes/workgroup (compile time only)
; SGPRBlocks: 4
; VGPRBlocks: 5
; NumSGPRsForWavesPerEU: 40
; NumVGPRsForWavesPerEU: 41
; AccumOffset: 44
; Occupancy: 8
; WaveLimiterHint : 1
; COMPUTE_PGM_RSRC2:SCRATCH_EN: 1
; COMPUTE_PGM_RSRC2:USER_SGPR: 2
; COMPUTE_PGM_RSRC2:TRAP_HANDLER: 0
; COMPUTE_PGM_RSRC2:TGID_X_EN: 1
; COMPUTE_PGM_RSRC2:TGID_Y_EN: 0
; COMPUTE_PGM_RSRC2:TGID_Z_EN: 0
; COMPUTE_PGM_RSRC2:TIDIG_COMP_CNT: 0
; COMPUTE_PGM_RSRC3_GFX90A:ACCUM_OFFSET: 10
; COMPUTE_PGM_RSRC3_GFX90A:TG_SPLIT: 0
	.section	.text._ZN4vllm18convert_fp8_kernelIhtLNS_18Fp8KVCacheDataTypeE0EEEvPKT0_PT_fl,"axG",@progbits,_ZN4vllm18convert_fp8_kernelIhtLNS_18Fp8KVCacheDataTypeE0EEEvPKT0_PT_fl,comdat
	.protected	_ZN4vllm18convert_fp8_kernelIhtLNS_18Fp8KVCacheDataTypeE0EEEvPKT0_PT_fl ; -- Begin function _ZN4vllm18convert_fp8_kernelIhtLNS_18Fp8KVCacheDataTypeE0EEEvPKT0_PT_fl
	.globl	_ZN4vllm18convert_fp8_kernelIhtLNS_18Fp8KVCacheDataTypeE0EEEvPKT0_PT_fl
	.p2align	8
	.type	_ZN4vllm18convert_fp8_kernelIhtLNS_18Fp8KVCacheDataTypeE0EEEvPKT0_PT_fl,@function
_ZN4vllm18convert_fp8_kernelIhtLNS_18Fp8KVCacheDataTypeE0EEEvPKT0_PT_fl: ; @_ZN4vllm18convert_fp8_kernelIhtLNS_18Fp8KVCacheDataTypeE0EEEvPKT0_PT_fl
; %bb.0:
	s_load_dwordx2 s[2:3], s[0:1], 0x18
	v_mov_b32_e32 v1, 0
	s_mov_b32 s32, 0
	s_waitcnt lgkmcnt(0)
	v_cmp_gt_i64_e32 vcc, s[2:3], v[0:1]
	s_and_saveexec_b64 s[2:3], vcc
	s_cbranch_execz .LBB29_2
; %bb.1:
	s_add_u32 s8, s0, 32
	s_addc_u32 s9, s1, 0
	s_getpc_b64 s[0:1]
	s_add_u32 s0, s0, __PRETTY_FUNCTION__._ZN4vllm3fp814scaled_convertIhtLNS_18Fp8KVCacheDataTypeE0EEET_RKT0_f@rel32@lo+4
	s_addc_u32 s1, s1, __PRETTY_FUNCTION__._ZN4vllm3fp814scaled_convertIhtLNS_18Fp8KVCacheDataTypeE0EEET_RKT0_f@rel32@hi+12
	s_getpc_b64 s[2:3]
	s_add_u32 s2, s2, __assert_fail@rel32@lo+4
	s_addc_u32 s3, s3, __assert_fail@rel32@hi+12
	v_mov_b32_e32 v0, s0
	v_mov_b32_e32 v1, s1
	s_swappc_b64 s[30:31], s[2:3]
	; divergent unreachable
.LBB29_2:
	s_endpgm
	.section	.rodata,"a",@progbits
	.p2align	6, 0x0
	.amdhsa_kernel _ZN4vllm18convert_fp8_kernelIhtLNS_18Fp8KVCacheDataTypeE0EEEvPKT0_PT_fl
		.amdhsa_group_segment_fixed_size 0
		.amdhsa_private_segment_fixed_size 64
		.amdhsa_kernarg_size 288
		.amdhsa_user_sgpr_count 2
		.amdhsa_user_sgpr_dispatch_ptr 0
		.amdhsa_user_sgpr_queue_ptr 0
		.amdhsa_user_sgpr_kernarg_segment_ptr 1
		.amdhsa_user_sgpr_dispatch_id 0
		.amdhsa_user_sgpr_kernarg_preload_length 0
		.amdhsa_user_sgpr_kernarg_preload_offset 0
		.amdhsa_user_sgpr_private_segment_size 0
		.amdhsa_uses_dynamic_stack 0
		.amdhsa_enable_private_segment 1
		.amdhsa_system_sgpr_workgroup_id_x 1
		.amdhsa_system_sgpr_workgroup_id_y 0
		.amdhsa_system_sgpr_workgroup_id_z 0
		.amdhsa_system_sgpr_workgroup_info 0
		.amdhsa_system_vgpr_workitem_id 0
		.amdhsa_next_free_vgpr 41
		.amdhsa_next_free_sgpr 34
		.amdhsa_accum_offset 44
		.amdhsa_reserve_vcc 1
		.amdhsa_float_round_mode_32 0
		.amdhsa_float_round_mode_16_64 0
		.amdhsa_float_denorm_mode_32 3
		.amdhsa_float_denorm_mode_16_64 3
		.amdhsa_dx10_clamp 1
		.amdhsa_ieee_mode 1
		.amdhsa_fp16_overflow 0
		.amdhsa_tg_split 0
		.amdhsa_exception_fp_ieee_invalid_op 0
		.amdhsa_exception_fp_denorm_src 0
		.amdhsa_exception_fp_ieee_div_zero 0
		.amdhsa_exception_fp_ieee_overflow 0
		.amdhsa_exception_fp_ieee_underflow 0
		.amdhsa_exception_fp_ieee_inexact 0
		.amdhsa_exception_int_div_zero 0
	.end_amdhsa_kernel
	.section	.text._ZN4vllm18convert_fp8_kernelIhtLNS_18Fp8KVCacheDataTypeE0EEEvPKT0_PT_fl,"axG",@progbits,_ZN4vllm18convert_fp8_kernelIhtLNS_18Fp8KVCacheDataTypeE0EEEvPKT0_PT_fl,comdat
.Lfunc_end29:
	.size	_ZN4vllm18convert_fp8_kernelIhtLNS_18Fp8KVCacheDataTypeE0EEEvPKT0_PT_fl, .Lfunc_end29-_ZN4vllm18convert_fp8_kernelIhtLNS_18Fp8KVCacheDataTypeE0EEEvPKT0_PT_fl
                                        ; -- End function
	.set _ZN4vllm18convert_fp8_kernelIhtLNS_18Fp8KVCacheDataTypeE0EEEvPKT0_PT_fl.num_vgpr, max(2, .L__assert_fail.num_vgpr)
	.set _ZN4vllm18convert_fp8_kernelIhtLNS_18Fp8KVCacheDataTypeE0EEEvPKT0_PT_fl.num_agpr, max(0, .L__assert_fail.num_agpr)
	.set _ZN4vllm18convert_fp8_kernelIhtLNS_18Fp8KVCacheDataTypeE0EEEvPKT0_PT_fl.numbered_sgpr, max(33, .L__assert_fail.numbered_sgpr)
	.set _ZN4vllm18convert_fp8_kernelIhtLNS_18Fp8KVCacheDataTypeE0EEEvPKT0_PT_fl.num_named_barrier, max(0, .L__assert_fail.num_named_barrier)
	.set _ZN4vllm18convert_fp8_kernelIhtLNS_18Fp8KVCacheDataTypeE0EEEvPKT0_PT_fl.private_seg_size, 0+max(.L__assert_fail.private_seg_size)
	.set _ZN4vllm18convert_fp8_kernelIhtLNS_18Fp8KVCacheDataTypeE0EEEvPKT0_PT_fl.uses_vcc, or(1, .L__assert_fail.uses_vcc)
	.set _ZN4vllm18convert_fp8_kernelIhtLNS_18Fp8KVCacheDataTypeE0EEEvPKT0_PT_fl.uses_flat_scratch, or(0, .L__assert_fail.uses_flat_scratch)
	.set _ZN4vllm18convert_fp8_kernelIhtLNS_18Fp8KVCacheDataTypeE0EEEvPKT0_PT_fl.has_dyn_sized_stack, or(0, .L__assert_fail.has_dyn_sized_stack)
	.set _ZN4vllm18convert_fp8_kernelIhtLNS_18Fp8KVCacheDataTypeE0EEEvPKT0_PT_fl.has_recursion, or(0, .L__assert_fail.has_recursion)
	.set _ZN4vllm18convert_fp8_kernelIhtLNS_18Fp8KVCacheDataTypeE0EEEvPKT0_PT_fl.has_indirect_call, or(0, .L__assert_fail.has_indirect_call)
	.section	.AMDGPU.csdata,"",@progbits
; Kernel info:
; codeLenInByte = 96
; TotalNumSgprs: 40
; NumVgprs: 41
; NumAgprs: 0
; TotalNumVgprs: 41
; ScratchSize: 64
; MemoryBound: 0
; FloatMode: 240
; IeeeMode: 1
; LDSByteSize: 0 bytes/workgroup (compile time only)
; SGPRBlocks: 4
; VGPRBlocks: 5
; NumSGPRsForWavesPerEU: 40
; NumVGPRsForWavesPerEU: 41
; AccumOffset: 44
; Occupancy: 8
; WaveLimiterHint : 1
; COMPUTE_PGM_RSRC2:SCRATCH_EN: 1
; COMPUTE_PGM_RSRC2:USER_SGPR: 2
; COMPUTE_PGM_RSRC2:TRAP_HANDLER: 0
; COMPUTE_PGM_RSRC2:TGID_X_EN: 1
; COMPUTE_PGM_RSRC2:TGID_Y_EN: 0
; COMPUTE_PGM_RSRC2:TGID_Z_EN: 0
; COMPUTE_PGM_RSRC2:TIDIG_COMP_CNT: 0
; COMPUTE_PGM_RSRC3_GFX90A:ACCUM_OFFSET: 10
; COMPUTE_PGM_RSRC3_GFX90A:TG_SPLIT: 0
	.section	.text._ZN4vllm18convert_fp8_kernelIh14__hip_bfloat16LNS_18Fp8KVCacheDataTypeE0EEEvPKT0_PT_fl,"axG",@progbits,_ZN4vllm18convert_fp8_kernelIh14__hip_bfloat16LNS_18Fp8KVCacheDataTypeE0EEEvPKT0_PT_fl,comdat
	.protected	_ZN4vllm18convert_fp8_kernelIh14__hip_bfloat16LNS_18Fp8KVCacheDataTypeE0EEEvPKT0_PT_fl ; -- Begin function _ZN4vllm18convert_fp8_kernelIh14__hip_bfloat16LNS_18Fp8KVCacheDataTypeE0EEEvPKT0_PT_fl
	.globl	_ZN4vllm18convert_fp8_kernelIh14__hip_bfloat16LNS_18Fp8KVCacheDataTypeE0EEEvPKT0_PT_fl
	.p2align	8
	.type	_ZN4vllm18convert_fp8_kernelIh14__hip_bfloat16LNS_18Fp8KVCacheDataTypeE0EEEvPKT0_PT_fl,@function
_ZN4vllm18convert_fp8_kernelIh14__hip_bfloat16LNS_18Fp8KVCacheDataTypeE0EEEvPKT0_PT_fl: ; @_ZN4vllm18convert_fp8_kernelIh14__hip_bfloat16LNS_18Fp8KVCacheDataTypeE0EEEvPKT0_PT_fl
; %bb.0:
	s_load_dwordx2 s[2:3], s[0:1], 0x18
	v_mov_b32_e32 v1, 0
	s_mov_b32 s32, 0
	s_waitcnt lgkmcnt(0)
	v_cmp_gt_i64_e32 vcc, s[2:3], v[0:1]
	s_and_saveexec_b64 s[2:3], vcc
	s_cbranch_execz .LBB30_2
; %bb.1:
	s_add_u32 s8, s0, 32
	s_addc_u32 s9, s1, 0
	s_getpc_b64 s[0:1]
	s_add_u32 s0, s0, __PRETTY_FUNCTION__._ZN4vllm3fp814scaled_convertIh14__hip_bfloat16LNS_18Fp8KVCacheDataTypeE0EEET_RKT0_f@rel32@lo+4
	s_addc_u32 s1, s1, __PRETTY_FUNCTION__._ZN4vllm3fp814scaled_convertIh14__hip_bfloat16LNS_18Fp8KVCacheDataTypeE0EEET_RKT0_f@rel32@hi+12
	s_getpc_b64 s[2:3]
	s_add_u32 s2, s2, __assert_fail@rel32@lo+4
	s_addc_u32 s3, s3, __assert_fail@rel32@hi+12
	v_mov_b32_e32 v0, s0
	v_mov_b32_e32 v1, s1
	s_swappc_b64 s[30:31], s[2:3]
	; divergent unreachable
.LBB30_2:
	s_endpgm
	.section	.rodata,"a",@progbits
	.p2align	6, 0x0
	.amdhsa_kernel _ZN4vllm18convert_fp8_kernelIh14__hip_bfloat16LNS_18Fp8KVCacheDataTypeE0EEEvPKT0_PT_fl
		.amdhsa_group_segment_fixed_size 0
		.amdhsa_private_segment_fixed_size 64
		.amdhsa_kernarg_size 288
		.amdhsa_user_sgpr_count 2
		.amdhsa_user_sgpr_dispatch_ptr 0
		.amdhsa_user_sgpr_queue_ptr 0
		.amdhsa_user_sgpr_kernarg_segment_ptr 1
		.amdhsa_user_sgpr_dispatch_id 0
		.amdhsa_user_sgpr_kernarg_preload_length 0
		.amdhsa_user_sgpr_kernarg_preload_offset 0
		.amdhsa_user_sgpr_private_segment_size 0
		.amdhsa_uses_dynamic_stack 0
		.amdhsa_enable_private_segment 1
		.amdhsa_system_sgpr_workgroup_id_x 1
		.amdhsa_system_sgpr_workgroup_id_y 0
		.amdhsa_system_sgpr_workgroup_id_z 0
		.amdhsa_system_sgpr_workgroup_info 0
		.amdhsa_system_vgpr_workitem_id 0
		.amdhsa_next_free_vgpr 41
		.amdhsa_next_free_sgpr 34
		.amdhsa_accum_offset 44
		.amdhsa_reserve_vcc 1
		.amdhsa_float_round_mode_32 0
		.amdhsa_float_round_mode_16_64 0
		.amdhsa_float_denorm_mode_32 3
		.amdhsa_float_denorm_mode_16_64 3
		.amdhsa_dx10_clamp 1
		.amdhsa_ieee_mode 1
		.amdhsa_fp16_overflow 0
		.amdhsa_tg_split 0
		.amdhsa_exception_fp_ieee_invalid_op 0
		.amdhsa_exception_fp_denorm_src 0
		.amdhsa_exception_fp_ieee_div_zero 0
		.amdhsa_exception_fp_ieee_overflow 0
		.amdhsa_exception_fp_ieee_underflow 0
		.amdhsa_exception_fp_ieee_inexact 0
		.amdhsa_exception_int_div_zero 0
	.end_amdhsa_kernel
	.section	.text._ZN4vllm18convert_fp8_kernelIh14__hip_bfloat16LNS_18Fp8KVCacheDataTypeE0EEEvPKT0_PT_fl,"axG",@progbits,_ZN4vllm18convert_fp8_kernelIh14__hip_bfloat16LNS_18Fp8KVCacheDataTypeE0EEEvPKT0_PT_fl,comdat
.Lfunc_end30:
	.size	_ZN4vllm18convert_fp8_kernelIh14__hip_bfloat16LNS_18Fp8KVCacheDataTypeE0EEEvPKT0_PT_fl, .Lfunc_end30-_ZN4vllm18convert_fp8_kernelIh14__hip_bfloat16LNS_18Fp8KVCacheDataTypeE0EEEvPKT0_PT_fl
                                        ; -- End function
	.set _ZN4vllm18convert_fp8_kernelIh14__hip_bfloat16LNS_18Fp8KVCacheDataTypeE0EEEvPKT0_PT_fl.num_vgpr, max(2, .L__assert_fail.num_vgpr)
	.set _ZN4vllm18convert_fp8_kernelIh14__hip_bfloat16LNS_18Fp8KVCacheDataTypeE0EEEvPKT0_PT_fl.num_agpr, max(0, .L__assert_fail.num_agpr)
	.set _ZN4vllm18convert_fp8_kernelIh14__hip_bfloat16LNS_18Fp8KVCacheDataTypeE0EEEvPKT0_PT_fl.numbered_sgpr, max(33, .L__assert_fail.numbered_sgpr)
	.set _ZN4vllm18convert_fp8_kernelIh14__hip_bfloat16LNS_18Fp8KVCacheDataTypeE0EEEvPKT0_PT_fl.num_named_barrier, max(0, .L__assert_fail.num_named_barrier)
	.set _ZN4vllm18convert_fp8_kernelIh14__hip_bfloat16LNS_18Fp8KVCacheDataTypeE0EEEvPKT0_PT_fl.private_seg_size, 0+max(.L__assert_fail.private_seg_size)
	.set _ZN4vllm18convert_fp8_kernelIh14__hip_bfloat16LNS_18Fp8KVCacheDataTypeE0EEEvPKT0_PT_fl.uses_vcc, or(1, .L__assert_fail.uses_vcc)
	.set _ZN4vllm18convert_fp8_kernelIh14__hip_bfloat16LNS_18Fp8KVCacheDataTypeE0EEEvPKT0_PT_fl.uses_flat_scratch, or(0, .L__assert_fail.uses_flat_scratch)
	.set _ZN4vllm18convert_fp8_kernelIh14__hip_bfloat16LNS_18Fp8KVCacheDataTypeE0EEEvPKT0_PT_fl.has_dyn_sized_stack, or(0, .L__assert_fail.has_dyn_sized_stack)
	.set _ZN4vllm18convert_fp8_kernelIh14__hip_bfloat16LNS_18Fp8KVCacheDataTypeE0EEEvPKT0_PT_fl.has_recursion, or(0, .L__assert_fail.has_recursion)
	.set _ZN4vllm18convert_fp8_kernelIh14__hip_bfloat16LNS_18Fp8KVCacheDataTypeE0EEEvPKT0_PT_fl.has_indirect_call, or(0, .L__assert_fail.has_indirect_call)
	.section	.AMDGPU.csdata,"",@progbits
; Kernel info:
; codeLenInByte = 96
; TotalNumSgprs: 40
; NumVgprs: 41
; NumAgprs: 0
; TotalNumVgprs: 41
; ScratchSize: 64
; MemoryBound: 0
; FloatMode: 240
; IeeeMode: 1
; LDSByteSize: 0 bytes/workgroup (compile time only)
; SGPRBlocks: 4
; VGPRBlocks: 5
; NumSGPRsForWavesPerEU: 40
; NumVGPRsForWavesPerEU: 41
; AccumOffset: 44
; Occupancy: 8
; WaveLimiterHint : 1
; COMPUTE_PGM_RSRC2:SCRATCH_EN: 1
; COMPUTE_PGM_RSRC2:USER_SGPR: 2
; COMPUTE_PGM_RSRC2:TRAP_HANDLER: 0
; COMPUTE_PGM_RSRC2:TGID_X_EN: 1
; COMPUTE_PGM_RSRC2:TGID_Y_EN: 0
; COMPUTE_PGM_RSRC2:TGID_Z_EN: 0
; COMPUTE_PGM_RSRC2:TIDIG_COMP_CNT: 0
; COMPUTE_PGM_RSRC3_GFX90A:ACCUM_OFFSET: 10
; COMPUTE_PGM_RSRC3_GFX90A:TG_SPLIT: 0
	.section	.text._ZN4vllm18convert_fp8_kernelIfhLNS_18Fp8KVCacheDataTypeE0EEEvPKT0_PT_fl,"axG",@progbits,_ZN4vllm18convert_fp8_kernelIfhLNS_18Fp8KVCacheDataTypeE0EEEvPKT0_PT_fl,comdat
	.protected	_ZN4vllm18convert_fp8_kernelIfhLNS_18Fp8KVCacheDataTypeE0EEEvPKT0_PT_fl ; -- Begin function _ZN4vllm18convert_fp8_kernelIfhLNS_18Fp8KVCacheDataTypeE0EEEvPKT0_PT_fl
	.globl	_ZN4vllm18convert_fp8_kernelIfhLNS_18Fp8KVCacheDataTypeE0EEEvPKT0_PT_fl
	.p2align	8
	.type	_ZN4vllm18convert_fp8_kernelIfhLNS_18Fp8KVCacheDataTypeE0EEEvPKT0_PT_fl,@function
_ZN4vllm18convert_fp8_kernelIfhLNS_18Fp8KVCacheDataTypeE0EEEvPKT0_PT_fl: ; @_ZN4vllm18convert_fp8_kernelIfhLNS_18Fp8KVCacheDataTypeE0EEEvPKT0_PT_fl
; %bb.0:
	s_load_dwordx2 s[2:3], s[0:1], 0x18
	v_mov_b32_e32 v1, 0
	s_mov_b32 s32, 0
	s_waitcnt lgkmcnt(0)
	v_cmp_gt_i64_e32 vcc, s[2:3], v[0:1]
	s_and_saveexec_b64 s[2:3], vcc
	s_cbranch_execz .LBB31_2
; %bb.1:
	s_add_u32 s8, s0, 32
	s_addc_u32 s9, s1, 0
	s_getpc_b64 s[0:1]
	s_add_u32 s0, s0, __PRETTY_FUNCTION__._ZN4vllm3fp814scaled_convertIfhLNS_18Fp8KVCacheDataTypeE0EEET_RKT0_f@rel32@lo+4
	s_addc_u32 s1, s1, __PRETTY_FUNCTION__._ZN4vllm3fp814scaled_convertIfhLNS_18Fp8KVCacheDataTypeE0EEET_RKT0_f@rel32@hi+12
	s_getpc_b64 s[2:3]
	s_add_u32 s2, s2, __assert_fail@rel32@lo+4
	s_addc_u32 s3, s3, __assert_fail@rel32@hi+12
	v_mov_b32_e32 v0, s0
	v_mov_b32_e32 v1, s1
	s_swappc_b64 s[30:31], s[2:3]
	; divergent unreachable
.LBB31_2:
	s_endpgm
	.section	.rodata,"a",@progbits
	.p2align	6, 0x0
	.amdhsa_kernel _ZN4vllm18convert_fp8_kernelIfhLNS_18Fp8KVCacheDataTypeE0EEEvPKT0_PT_fl
		.amdhsa_group_segment_fixed_size 0
		.amdhsa_private_segment_fixed_size 64
		.amdhsa_kernarg_size 288
		.amdhsa_user_sgpr_count 2
		.amdhsa_user_sgpr_dispatch_ptr 0
		.amdhsa_user_sgpr_queue_ptr 0
		.amdhsa_user_sgpr_kernarg_segment_ptr 1
		.amdhsa_user_sgpr_dispatch_id 0
		.amdhsa_user_sgpr_kernarg_preload_length 0
		.amdhsa_user_sgpr_kernarg_preload_offset 0
		.amdhsa_user_sgpr_private_segment_size 0
		.amdhsa_uses_dynamic_stack 0
		.amdhsa_enable_private_segment 1
		.amdhsa_system_sgpr_workgroup_id_x 1
		.amdhsa_system_sgpr_workgroup_id_y 0
		.amdhsa_system_sgpr_workgroup_id_z 0
		.amdhsa_system_sgpr_workgroup_info 0
		.amdhsa_system_vgpr_workitem_id 0
		.amdhsa_next_free_vgpr 41
		.amdhsa_next_free_sgpr 34
		.amdhsa_accum_offset 44
		.amdhsa_reserve_vcc 1
		.amdhsa_float_round_mode_32 0
		.amdhsa_float_round_mode_16_64 0
		.amdhsa_float_denorm_mode_32 3
		.amdhsa_float_denorm_mode_16_64 3
		.amdhsa_dx10_clamp 1
		.amdhsa_ieee_mode 1
		.amdhsa_fp16_overflow 0
		.amdhsa_tg_split 0
		.amdhsa_exception_fp_ieee_invalid_op 0
		.amdhsa_exception_fp_denorm_src 0
		.amdhsa_exception_fp_ieee_div_zero 0
		.amdhsa_exception_fp_ieee_overflow 0
		.amdhsa_exception_fp_ieee_underflow 0
		.amdhsa_exception_fp_ieee_inexact 0
		.amdhsa_exception_int_div_zero 0
	.end_amdhsa_kernel
	.section	.text._ZN4vllm18convert_fp8_kernelIfhLNS_18Fp8KVCacheDataTypeE0EEEvPKT0_PT_fl,"axG",@progbits,_ZN4vllm18convert_fp8_kernelIfhLNS_18Fp8KVCacheDataTypeE0EEEvPKT0_PT_fl,comdat
.Lfunc_end31:
	.size	_ZN4vllm18convert_fp8_kernelIfhLNS_18Fp8KVCacheDataTypeE0EEEvPKT0_PT_fl, .Lfunc_end31-_ZN4vllm18convert_fp8_kernelIfhLNS_18Fp8KVCacheDataTypeE0EEEvPKT0_PT_fl
                                        ; -- End function
	.set _ZN4vllm18convert_fp8_kernelIfhLNS_18Fp8KVCacheDataTypeE0EEEvPKT0_PT_fl.num_vgpr, max(2, .L__assert_fail.num_vgpr)
	.set _ZN4vllm18convert_fp8_kernelIfhLNS_18Fp8KVCacheDataTypeE0EEEvPKT0_PT_fl.num_agpr, max(0, .L__assert_fail.num_agpr)
	.set _ZN4vllm18convert_fp8_kernelIfhLNS_18Fp8KVCacheDataTypeE0EEEvPKT0_PT_fl.numbered_sgpr, max(33, .L__assert_fail.numbered_sgpr)
	.set _ZN4vllm18convert_fp8_kernelIfhLNS_18Fp8KVCacheDataTypeE0EEEvPKT0_PT_fl.num_named_barrier, max(0, .L__assert_fail.num_named_barrier)
	.set _ZN4vllm18convert_fp8_kernelIfhLNS_18Fp8KVCacheDataTypeE0EEEvPKT0_PT_fl.private_seg_size, 0+max(.L__assert_fail.private_seg_size)
	.set _ZN4vllm18convert_fp8_kernelIfhLNS_18Fp8KVCacheDataTypeE0EEEvPKT0_PT_fl.uses_vcc, or(1, .L__assert_fail.uses_vcc)
	.set _ZN4vllm18convert_fp8_kernelIfhLNS_18Fp8KVCacheDataTypeE0EEEvPKT0_PT_fl.uses_flat_scratch, or(0, .L__assert_fail.uses_flat_scratch)
	.set _ZN4vllm18convert_fp8_kernelIfhLNS_18Fp8KVCacheDataTypeE0EEEvPKT0_PT_fl.has_dyn_sized_stack, or(0, .L__assert_fail.has_dyn_sized_stack)
	.set _ZN4vllm18convert_fp8_kernelIfhLNS_18Fp8KVCacheDataTypeE0EEEvPKT0_PT_fl.has_recursion, or(0, .L__assert_fail.has_recursion)
	.set _ZN4vllm18convert_fp8_kernelIfhLNS_18Fp8KVCacheDataTypeE0EEEvPKT0_PT_fl.has_indirect_call, or(0, .L__assert_fail.has_indirect_call)
	.section	.AMDGPU.csdata,"",@progbits
; Kernel info:
; codeLenInByte = 96
; TotalNumSgprs: 40
; NumVgprs: 41
; NumAgprs: 0
; TotalNumVgprs: 41
; ScratchSize: 64
; MemoryBound: 0
; FloatMode: 240
; IeeeMode: 1
; LDSByteSize: 0 bytes/workgroup (compile time only)
; SGPRBlocks: 4
; VGPRBlocks: 5
; NumSGPRsForWavesPerEU: 40
; NumVGPRsForWavesPerEU: 41
; AccumOffset: 44
; Occupancy: 8
; WaveLimiterHint : 1
; COMPUTE_PGM_RSRC2:SCRATCH_EN: 1
; COMPUTE_PGM_RSRC2:USER_SGPR: 2
; COMPUTE_PGM_RSRC2:TRAP_HANDLER: 0
; COMPUTE_PGM_RSRC2:TGID_X_EN: 1
; COMPUTE_PGM_RSRC2:TGID_Y_EN: 0
; COMPUTE_PGM_RSRC2:TGID_Z_EN: 0
; COMPUTE_PGM_RSRC2:TIDIG_COMP_CNT: 0
; COMPUTE_PGM_RSRC3_GFX90A:ACCUM_OFFSET: 10
; COMPUTE_PGM_RSRC3_GFX90A:TG_SPLIT: 0
	.section	.text._ZN4vllm18convert_fp8_kernelIthLNS_18Fp8KVCacheDataTypeE0EEEvPKT0_PT_fl,"axG",@progbits,_ZN4vllm18convert_fp8_kernelIthLNS_18Fp8KVCacheDataTypeE0EEEvPKT0_PT_fl,comdat
	.protected	_ZN4vllm18convert_fp8_kernelIthLNS_18Fp8KVCacheDataTypeE0EEEvPKT0_PT_fl ; -- Begin function _ZN4vllm18convert_fp8_kernelIthLNS_18Fp8KVCacheDataTypeE0EEEvPKT0_PT_fl
	.globl	_ZN4vllm18convert_fp8_kernelIthLNS_18Fp8KVCacheDataTypeE0EEEvPKT0_PT_fl
	.p2align	8
	.type	_ZN4vllm18convert_fp8_kernelIthLNS_18Fp8KVCacheDataTypeE0EEEvPKT0_PT_fl,@function
_ZN4vllm18convert_fp8_kernelIthLNS_18Fp8KVCacheDataTypeE0EEEvPKT0_PT_fl: ; @_ZN4vllm18convert_fp8_kernelIthLNS_18Fp8KVCacheDataTypeE0EEEvPKT0_PT_fl
; %bb.0:
	s_load_dwordx2 s[2:3], s[0:1], 0x18
	v_mov_b32_e32 v1, 0
	s_mov_b32 s32, 0
	s_waitcnt lgkmcnt(0)
	v_cmp_gt_i64_e32 vcc, s[2:3], v[0:1]
	s_and_saveexec_b64 s[2:3], vcc
	s_cbranch_execz .LBB32_2
; %bb.1:
	s_add_u32 s8, s0, 32
	s_addc_u32 s9, s1, 0
	s_getpc_b64 s[0:1]
	s_add_u32 s0, s0, __PRETTY_FUNCTION__._ZN4vllm3fp814scaled_convertIthLNS_18Fp8KVCacheDataTypeE0EEET_RKT0_f@rel32@lo+4
	s_addc_u32 s1, s1, __PRETTY_FUNCTION__._ZN4vllm3fp814scaled_convertIthLNS_18Fp8KVCacheDataTypeE0EEET_RKT0_f@rel32@hi+12
	s_getpc_b64 s[2:3]
	s_add_u32 s2, s2, __assert_fail@rel32@lo+4
	s_addc_u32 s3, s3, __assert_fail@rel32@hi+12
	v_mov_b32_e32 v0, s0
	v_mov_b32_e32 v1, s1
	s_swappc_b64 s[30:31], s[2:3]
	; divergent unreachable
.LBB32_2:
	s_endpgm
	.section	.rodata,"a",@progbits
	.p2align	6, 0x0
	.amdhsa_kernel _ZN4vllm18convert_fp8_kernelIthLNS_18Fp8KVCacheDataTypeE0EEEvPKT0_PT_fl
		.amdhsa_group_segment_fixed_size 0
		.amdhsa_private_segment_fixed_size 64
		.amdhsa_kernarg_size 288
		.amdhsa_user_sgpr_count 2
		.amdhsa_user_sgpr_dispatch_ptr 0
		.amdhsa_user_sgpr_queue_ptr 0
		.amdhsa_user_sgpr_kernarg_segment_ptr 1
		.amdhsa_user_sgpr_dispatch_id 0
		.amdhsa_user_sgpr_kernarg_preload_length 0
		.amdhsa_user_sgpr_kernarg_preload_offset 0
		.amdhsa_user_sgpr_private_segment_size 0
		.amdhsa_uses_dynamic_stack 0
		.amdhsa_enable_private_segment 1
		.amdhsa_system_sgpr_workgroup_id_x 1
		.amdhsa_system_sgpr_workgroup_id_y 0
		.amdhsa_system_sgpr_workgroup_id_z 0
		.amdhsa_system_sgpr_workgroup_info 0
		.amdhsa_system_vgpr_workitem_id 0
		.amdhsa_next_free_vgpr 41
		.amdhsa_next_free_sgpr 34
		.amdhsa_accum_offset 44
		.amdhsa_reserve_vcc 1
		.amdhsa_float_round_mode_32 0
		.amdhsa_float_round_mode_16_64 0
		.amdhsa_float_denorm_mode_32 3
		.amdhsa_float_denorm_mode_16_64 3
		.amdhsa_dx10_clamp 1
		.amdhsa_ieee_mode 1
		.amdhsa_fp16_overflow 0
		.amdhsa_tg_split 0
		.amdhsa_exception_fp_ieee_invalid_op 0
		.amdhsa_exception_fp_denorm_src 0
		.amdhsa_exception_fp_ieee_div_zero 0
		.amdhsa_exception_fp_ieee_overflow 0
		.amdhsa_exception_fp_ieee_underflow 0
		.amdhsa_exception_fp_ieee_inexact 0
		.amdhsa_exception_int_div_zero 0
	.end_amdhsa_kernel
	.section	.text._ZN4vllm18convert_fp8_kernelIthLNS_18Fp8KVCacheDataTypeE0EEEvPKT0_PT_fl,"axG",@progbits,_ZN4vllm18convert_fp8_kernelIthLNS_18Fp8KVCacheDataTypeE0EEEvPKT0_PT_fl,comdat
.Lfunc_end32:
	.size	_ZN4vllm18convert_fp8_kernelIthLNS_18Fp8KVCacheDataTypeE0EEEvPKT0_PT_fl, .Lfunc_end32-_ZN4vllm18convert_fp8_kernelIthLNS_18Fp8KVCacheDataTypeE0EEEvPKT0_PT_fl
                                        ; -- End function
	.set _ZN4vllm18convert_fp8_kernelIthLNS_18Fp8KVCacheDataTypeE0EEEvPKT0_PT_fl.num_vgpr, max(2, .L__assert_fail.num_vgpr)
	.set _ZN4vllm18convert_fp8_kernelIthLNS_18Fp8KVCacheDataTypeE0EEEvPKT0_PT_fl.num_agpr, max(0, .L__assert_fail.num_agpr)
	.set _ZN4vllm18convert_fp8_kernelIthLNS_18Fp8KVCacheDataTypeE0EEEvPKT0_PT_fl.numbered_sgpr, max(33, .L__assert_fail.numbered_sgpr)
	.set _ZN4vllm18convert_fp8_kernelIthLNS_18Fp8KVCacheDataTypeE0EEEvPKT0_PT_fl.num_named_barrier, max(0, .L__assert_fail.num_named_barrier)
	.set _ZN4vllm18convert_fp8_kernelIthLNS_18Fp8KVCacheDataTypeE0EEEvPKT0_PT_fl.private_seg_size, 0+max(.L__assert_fail.private_seg_size)
	.set _ZN4vllm18convert_fp8_kernelIthLNS_18Fp8KVCacheDataTypeE0EEEvPKT0_PT_fl.uses_vcc, or(1, .L__assert_fail.uses_vcc)
	.set _ZN4vllm18convert_fp8_kernelIthLNS_18Fp8KVCacheDataTypeE0EEEvPKT0_PT_fl.uses_flat_scratch, or(0, .L__assert_fail.uses_flat_scratch)
	.set _ZN4vllm18convert_fp8_kernelIthLNS_18Fp8KVCacheDataTypeE0EEEvPKT0_PT_fl.has_dyn_sized_stack, or(0, .L__assert_fail.has_dyn_sized_stack)
	.set _ZN4vllm18convert_fp8_kernelIthLNS_18Fp8KVCacheDataTypeE0EEEvPKT0_PT_fl.has_recursion, or(0, .L__assert_fail.has_recursion)
	.set _ZN4vllm18convert_fp8_kernelIthLNS_18Fp8KVCacheDataTypeE0EEEvPKT0_PT_fl.has_indirect_call, or(0, .L__assert_fail.has_indirect_call)
	.section	.AMDGPU.csdata,"",@progbits
; Kernel info:
; codeLenInByte = 96
; TotalNumSgprs: 40
; NumVgprs: 41
; NumAgprs: 0
; TotalNumVgprs: 41
; ScratchSize: 64
; MemoryBound: 0
; FloatMode: 240
; IeeeMode: 1
; LDSByteSize: 0 bytes/workgroup (compile time only)
; SGPRBlocks: 4
; VGPRBlocks: 5
; NumSGPRsForWavesPerEU: 40
; NumVGPRsForWavesPerEU: 41
; AccumOffset: 44
; Occupancy: 8
; WaveLimiterHint : 1
; COMPUTE_PGM_RSRC2:SCRATCH_EN: 1
; COMPUTE_PGM_RSRC2:USER_SGPR: 2
; COMPUTE_PGM_RSRC2:TRAP_HANDLER: 0
; COMPUTE_PGM_RSRC2:TGID_X_EN: 1
; COMPUTE_PGM_RSRC2:TGID_Y_EN: 0
; COMPUTE_PGM_RSRC2:TGID_Z_EN: 0
; COMPUTE_PGM_RSRC2:TIDIG_COMP_CNT: 0
; COMPUTE_PGM_RSRC3_GFX90A:ACCUM_OFFSET: 10
; COMPUTE_PGM_RSRC3_GFX90A:TG_SPLIT: 0
	.section	.text._ZN4vllm18convert_fp8_kernelI14__hip_bfloat16hLNS_18Fp8KVCacheDataTypeE0EEEvPKT0_PT_fl,"axG",@progbits,_ZN4vllm18convert_fp8_kernelI14__hip_bfloat16hLNS_18Fp8KVCacheDataTypeE0EEEvPKT0_PT_fl,comdat
	.protected	_ZN4vllm18convert_fp8_kernelI14__hip_bfloat16hLNS_18Fp8KVCacheDataTypeE0EEEvPKT0_PT_fl ; -- Begin function _ZN4vllm18convert_fp8_kernelI14__hip_bfloat16hLNS_18Fp8KVCacheDataTypeE0EEEvPKT0_PT_fl
	.globl	_ZN4vllm18convert_fp8_kernelI14__hip_bfloat16hLNS_18Fp8KVCacheDataTypeE0EEEvPKT0_PT_fl
	.p2align	8
	.type	_ZN4vllm18convert_fp8_kernelI14__hip_bfloat16hLNS_18Fp8KVCacheDataTypeE0EEEvPKT0_PT_fl,@function
_ZN4vllm18convert_fp8_kernelI14__hip_bfloat16hLNS_18Fp8KVCacheDataTypeE0EEEvPKT0_PT_fl: ; @_ZN4vllm18convert_fp8_kernelI14__hip_bfloat16hLNS_18Fp8KVCacheDataTypeE0EEEvPKT0_PT_fl
; %bb.0:
	s_load_dwordx2 s[2:3], s[0:1], 0x18
	v_mov_b32_e32 v1, 0
	s_mov_b32 s32, 0
	s_waitcnt lgkmcnt(0)
	v_cmp_gt_i64_e32 vcc, s[2:3], v[0:1]
	s_and_saveexec_b64 s[2:3], vcc
	s_cbranch_execz .LBB33_2
; %bb.1:
	s_add_u32 s8, s0, 32
	s_addc_u32 s9, s1, 0
	s_getpc_b64 s[0:1]
	s_add_u32 s0, s0, __PRETTY_FUNCTION__._ZN4vllm3fp814scaled_convertI14__hip_bfloat16hLNS_18Fp8KVCacheDataTypeE0EEET_RKT0_f@rel32@lo+4
	s_addc_u32 s1, s1, __PRETTY_FUNCTION__._ZN4vllm3fp814scaled_convertI14__hip_bfloat16hLNS_18Fp8KVCacheDataTypeE0EEET_RKT0_f@rel32@hi+12
	s_getpc_b64 s[2:3]
	s_add_u32 s2, s2, __assert_fail@rel32@lo+4
	s_addc_u32 s3, s3, __assert_fail@rel32@hi+12
	v_mov_b32_e32 v0, s0
	v_mov_b32_e32 v1, s1
	s_swappc_b64 s[30:31], s[2:3]
	; divergent unreachable
.LBB33_2:
	s_endpgm
	.section	.rodata,"a",@progbits
	.p2align	6, 0x0
	.amdhsa_kernel _ZN4vllm18convert_fp8_kernelI14__hip_bfloat16hLNS_18Fp8KVCacheDataTypeE0EEEvPKT0_PT_fl
		.amdhsa_group_segment_fixed_size 0
		.amdhsa_private_segment_fixed_size 64
		.amdhsa_kernarg_size 288
		.amdhsa_user_sgpr_count 2
		.amdhsa_user_sgpr_dispatch_ptr 0
		.amdhsa_user_sgpr_queue_ptr 0
		.amdhsa_user_sgpr_kernarg_segment_ptr 1
		.amdhsa_user_sgpr_dispatch_id 0
		.amdhsa_user_sgpr_kernarg_preload_length 0
		.amdhsa_user_sgpr_kernarg_preload_offset 0
		.amdhsa_user_sgpr_private_segment_size 0
		.amdhsa_uses_dynamic_stack 0
		.amdhsa_enable_private_segment 1
		.amdhsa_system_sgpr_workgroup_id_x 1
		.amdhsa_system_sgpr_workgroup_id_y 0
		.amdhsa_system_sgpr_workgroup_id_z 0
		.amdhsa_system_sgpr_workgroup_info 0
		.amdhsa_system_vgpr_workitem_id 0
		.amdhsa_next_free_vgpr 41
		.amdhsa_next_free_sgpr 34
		.amdhsa_accum_offset 44
		.amdhsa_reserve_vcc 1
		.amdhsa_float_round_mode_32 0
		.amdhsa_float_round_mode_16_64 0
		.amdhsa_float_denorm_mode_32 3
		.amdhsa_float_denorm_mode_16_64 3
		.amdhsa_dx10_clamp 1
		.amdhsa_ieee_mode 1
		.amdhsa_fp16_overflow 0
		.amdhsa_tg_split 0
		.amdhsa_exception_fp_ieee_invalid_op 0
		.amdhsa_exception_fp_denorm_src 0
		.amdhsa_exception_fp_ieee_div_zero 0
		.amdhsa_exception_fp_ieee_overflow 0
		.amdhsa_exception_fp_ieee_underflow 0
		.amdhsa_exception_fp_ieee_inexact 0
		.amdhsa_exception_int_div_zero 0
	.end_amdhsa_kernel
	.section	.text._ZN4vllm18convert_fp8_kernelI14__hip_bfloat16hLNS_18Fp8KVCacheDataTypeE0EEEvPKT0_PT_fl,"axG",@progbits,_ZN4vllm18convert_fp8_kernelI14__hip_bfloat16hLNS_18Fp8KVCacheDataTypeE0EEEvPKT0_PT_fl,comdat
.Lfunc_end33:
	.size	_ZN4vllm18convert_fp8_kernelI14__hip_bfloat16hLNS_18Fp8KVCacheDataTypeE0EEEvPKT0_PT_fl, .Lfunc_end33-_ZN4vllm18convert_fp8_kernelI14__hip_bfloat16hLNS_18Fp8KVCacheDataTypeE0EEEvPKT0_PT_fl
                                        ; -- End function
	.set _ZN4vllm18convert_fp8_kernelI14__hip_bfloat16hLNS_18Fp8KVCacheDataTypeE0EEEvPKT0_PT_fl.num_vgpr, max(2, .L__assert_fail.num_vgpr)
	.set _ZN4vllm18convert_fp8_kernelI14__hip_bfloat16hLNS_18Fp8KVCacheDataTypeE0EEEvPKT0_PT_fl.num_agpr, max(0, .L__assert_fail.num_agpr)
	.set _ZN4vllm18convert_fp8_kernelI14__hip_bfloat16hLNS_18Fp8KVCacheDataTypeE0EEEvPKT0_PT_fl.numbered_sgpr, max(33, .L__assert_fail.numbered_sgpr)
	.set _ZN4vllm18convert_fp8_kernelI14__hip_bfloat16hLNS_18Fp8KVCacheDataTypeE0EEEvPKT0_PT_fl.num_named_barrier, max(0, .L__assert_fail.num_named_barrier)
	.set _ZN4vllm18convert_fp8_kernelI14__hip_bfloat16hLNS_18Fp8KVCacheDataTypeE0EEEvPKT0_PT_fl.private_seg_size, 0+max(.L__assert_fail.private_seg_size)
	.set _ZN4vllm18convert_fp8_kernelI14__hip_bfloat16hLNS_18Fp8KVCacheDataTypeE0EEEvPKT0_PT_fl.uses_vcc, or(1, .L__assert_fail.uses_vcc)
	.set _ZN4vllm18convert_fp8_kernelI14__hip_bfloat16hLNS_18Fp8KVCacheDataTypeE0EEEvPKT0_PT_fl.uses_flat_scratch, or(0, .L__assert_fail.uses_flat_scratch)
	.set _ZN4vllm18convert_fp8_kernelI14__hip_bfloat16hLNS_18Fp8KVCacheDataTypeE0EEEvPKT0_PT_fl.has_dyn_sized_stack, or(0, .L__assert_fail.has_dyn_sized_stack)
	.set _ZN4vllm18convert_fp8_kernelI14__hip_bfloat16hLNS_18Fp8KVCacheDataTypeE0EEEvPKT0_PT_fl.has_recursion, or(0, .L__assert_fail.has_recursion)
	.set _ZN4vllm18convert_fp8_kernelI14__hip_bfloat16hLNS_18Fp8KVCacheDataTypeE0EEEvPKT0_PT_fl.has_indirect_call, or(0, .L__assert_fail.has_indirect_call)
	.section	.AMDGPU.csdata,"",@progbits
; Kernel info:
; codeLenInByte = 96
; TotalNumSgprs: 40
; NumVgprs: 41
; NumAgprs: 0
; TotalNumVgprs: 41
; ScratchSize: 64
; MemoryBound: 0
; FloatMode: 240
; IeeeMode: 1
; LDSByteSize: 0 bytes/workgroup (compile time only)
; SGPRBlocks: 4
; VGPRBlocks: 5
; NumSGPRsForWavesPerEU: 40
; NumVGPRsForWavesPerEU: 41
; AccumOffset: 44
; Occupancy: 8
; WaveLimiterHint : 1
; COMPUTE_PGM_RSRC2:SCRATCH_EN: 1
; COMPUTE_PGM_RSRC2:USER_SGPR: 2
; COMPUTE_PGM_RSRC2:TRAP_HANDLER: 0
; COMPUTE_PGM_RSRC2:TGID_X_EN: 1
; COMPUTE_PGM_RSRC2:TGID_Y_EN: 0
; COMPUTE_PGM_RSRC2:TGID_Z_EN: 0
; COMPUTE_PGM_RSRC2:TIDIG_COMP_CNT: 0
; COMPUTE_PGM_RSRC3_GFX90A:ACCUM_OFFSET: 10
; COMPUTE_PGM_RSRC3_GFX90A:TG_SPLIT: 0
	.section	.text._ZN4vllm18convert_fp8_kernelIhfLNS_18Fp8KVCacheDataTypeE1EEEvPKT0_PT_fl,"axG",@progbits,_ZN4vllm18convert_fp8_kernelIhfLNS_18Fp8KVCacheDataTypeE1EEEvPKT0_PT_fl,comdat
	.protected	_ZN4vllm18convert_fp8_kernelIhfLNS_18Fp8KVCacheDataTypeE1EEEvPKT0_PT_fl ; -- Begin function _ZN4vllm18convert_fp8_kernelIhfLNS_18Fp8KVCacheDataTypeE1EEEvPKT0_PT_fl
	.globl	_ZN4vllm18convert_fp8_kernelIhfLNS_18Fp8KVCacheDataTypeE1EEEvPKT0_PT_fl
	.p2align	8
	.type	_ZN4vllm18convert_fp8_kernelIhfLNS_18Fp8KVCacheDataTypeE1EEEvPKT0_PT_fl,@function
_ZN4vllm18convert_fp8_kernelIhfLNS_18Fp8KVCacheDataTypeE1EEEvPKT0_PT_fl: ; @_ZN4vllm18convert_fp8_kernelIhfLNS_18Fp8KVCacheDataTypeE1EEEvPKT0_PT_fl
; %bb.0:
	s_load_dwordx2 s[8:9], s[0:1], 0x18
	v_mov_b32_e32 v1, 0
	s_waitcnt lgkmcnt(0)
	v_cmp_gt_i64_e32 vcc, s[8:9], v[0:1]
	s_and_saveexec_b64 s[4:5], vcc
	s_cbranch_execz .LBB34_3
; %bb.1:
	s_load_dwordx4 s[4:7], s[0:1], 0x0
	s_load_dword s10, s[0:1], 0x10
	s_load_dword s3, s[0:1], 0x2c
	s_mul_i32 s0, s9, s2
	s_mul_hi_u32 s1, s8, s2
	s_add_i32 s1, s1, s0
	s_mul_i32 s0, s8, s2
	s_waitcnt lgkmcnt(0)
	s_and_b32 s11, s3, 0xffff
	v_add_u32_e32 v2, s11, v0
	s_mov_b64 s[2:3], 0
	s_mov_b32 s12, 0x7f800000
	s_mov_b32 s13, 0x43e00000
	v_mov_b32_e32 v4, 0xc3e00000
.LBB34_2:                               ; =>This Inner Loop Header: Depth=1
	v_lshl_add_u64 v[0:1], v[0:1], 0, s[0:1]
	v_lshl_add_u64 v[6:7], v[0:1], 2, s[4:5]
	global_load_dword v5, v[6:7], off
	v_mov_b32_e32 v8, 0
	v_ashrrev_i32_e32 v3, 31, v2
	v_lshl_add_u64 v[6:7], s[6:7], 0, v[0:1]
	v_mov_b64_e32 v[0:1], v[2:3]
	s_waitcnt vmcnt(0)
	v_div_scale_f32 v9, s[14:15], s10, s10, v5
	v_rcp_f32_e32 v10, v9
	v_div_scale_f32 v11, vcc, v5, s10, v5
	v_fma_f32 v12, -v9, v10, 1.0
	v_fmac_f32_e32 v10, v12, v10
	v_mul_f32_e32 v12, v11, v10
	v_fma_f32 v13, -v9, v12, v11
	v_fmac_f32_e32 v12, v13, v10
	v_fma_f32 v9, -v9, v12, v11
	v_div_fmas_f32 v9, v9, v10, v12
	v_div_fixup_f32 v5, v9, s10, v5
	v_med3_f32 v9, v5, s13, v4
	v_cmp_nlg_f32_e64 vcc, |v5|, s12
	s_nop 1
	v_cndmask_b32_e32 v5, v9, v5, vcc
	v_cvt_pk_fp8_f32 v8, v5, v5
	v_cmp_le_i64_e32 vcc, s[8:9], v[2:3]
	v_add_u32_e32 v2, s11, v2
	s_or_b64 s[2:3], vcc, s[2:3]
	global_store_byte v[6:7], v8, off
	s_andn2_b64 exec, exec, s[2:3]
	s_cbranch_execnz .LBB34_2
.LBB34_3:
	s_endpgm
	.section	.rodata,"a",@progbits
	.p2align	6, 0x0
	.amdhsa_kernel _ZN4vllm18convert_fp8_kernelIhfLNS_18Fp8KVCacheDataTypeE1EEEvPKT0_PT_fl
		.amdhsa_group_segment_fixed_size 0
		.amdhsa_private_segment_fixed_size 0
		.amdhsa_kernarg_size 288
		.amdhsa_user_sgpr_count 2
		.amdhsa_user_sgpr_dispatch_ptr 0
		.amdhsa_user_sgpr_queue_ptr 0
		.amdhsa_user_sgpr_kernarg_segment_ptr 1
		.amdhsa_user_sgpr_dispatch_id 0
		.amdhsa_user_sgpr_kernarg_preload_length 0
		.amdhsa_user_sgpr_kernarg_preload_offset 0
		.amdhsa_user_sgpr_private_segment_size 0
		.amdhsa_uses_dynamic_stack 0
		.amdhsa_enable_private_segment 0
		.amdhsa_system_sgpr_workgroup_id_x 1
		.amdhsa_system_sgpr_workgroup_id_y 0
		.amdhsa_system_sgpr_workgroup_id_z 0
		.amdhsa_system_sgpr_workgroup_info 0
		.amdhsa_system_vgpr_workitem_id 0
		.amdhsa_next_free_vgpr 14
		.amdhsa_next_free_sgpr 16
		.amdhsa_accum_offset 16
		.amdhsa_reserve_vcc 1
		.amdhsa_float_round_mode_32 0
		.amdhsa_float_round_mode_16_64 0
		.amdhsa_float_denorm_mode_32 3
		.amdhsa_float_denorm_mode_16_64 3
		.amdhsa_dx10_clamp 1
		.amdhsa_ieee_mode 1
		.amdhsa_fp16_overflow 0
		.amdhsa_tg_split 0
		.amdhsa_exception_fp_ieee_invalid_op 0
		.amdhsa_exception_fp_denorm_src 0
		.amdhsa_exception_fp_ieee_div_zero 0
		.amdhsa_exception_fp_ieee_overflow 0
		.amdhsa_exception_fp_ieee_underflow 0
		.amdhsa_exception_fp_ieee_inexact 0
		.amdhsa_exception_int_div_zero 0
	.end_amdhsa_kernel
	.section	.text._ZN4vllm18convert_fp8_kernelIhfLNS_18Fp8KVCacheDataTypeE1EEEvPKT0_PT_fl,"axG",@progbits,_ZN4vllm18convert_fp8_kernelIhfLNS_18Fp8KVCacheDataTypeE1EEEvPKT0_PT_fl,comdat
.Lfunc_end34:
	.size	_ZN4vllm18convert_fp8_kernelIhfLNS_18Fp8KVCacheDataTypeE1EEEvPKT0_PT_fl, .Lfunc_end34-_ZN4vllm18convert_fp8_kernelIhfLNS_18Fp8KVCacheDataTypeE1EEEvPKT0_PT_fl
                                        ; -- End function
	.set _ZN4vllm18convert_fp8_kernelIhfLNS_18Fp8KVCacheDataTypeE1EEEvPKT0_PT_fl.num_vgpr, 14
	.set _ZN4vllm18convert_fp8_kernelIhfLNS_18Fp8KVCacheDataTypeE1EEEvPKT0_PT_fl.num_agpr, 0
	.set _ZN4vllm18convert_fp8_kernelIhfLNS_18Fp8KVCacheDataTypeE1EEEvPKT0_PT_fl.numbered_sgpr, 16
	.set _ZN4vllm18convert_fp8_kernelIhfLNS_18Fp8KVCacheDataTypeE1EEEvPKT0_PT_fl.num_named_barrier, 0
	.set _ZN4vllm18convert_fp8_kernelIhfLNS_18Fp8KVCacheDataTypeE1EEEvPKT0_PT_fl.private_seg_size, 0
	.set _ZN4vllm18convert_fp8_kernelIhfLNS_18Fp8KVCacheDataTypeE1EEEvPKT0_PT_fl.uses_vcc, 1
	.set _ZN4vllm18convert_fp8_kernelIhfLNS_18Fp8KVCacheDataTypeE1EEEvPKT0_PT_fl.uses_flat_scratch, 0
	.set _ZN4vllm18convert_fp8_kernelIhfLNS_18Fp8KVCacheDataTypeE1EEEvPKT0_PT_fl.has_dyn_sized_stack, 0
	.set _ZN4vllm18convert_fp8_kernelIhfLNS_18Fp8KVCacheDataTypeE1EEEvPKT0_PT_fl.has_recursion, 0
	.set _ZN4vllm18convert_fp8_kernelIhfLNS_18Fp8KVCacheDataTypeE1EEEvPKT0_PT_fl.has_indirect_call, 0
	.section	.AMDGPU.csdata,"",@progbits
; Kernel info:
; codeLenInByte = 296
; TotalNumSgprs: 22
; NumVgprs: 14
; NumAgprs: 0
; TotalNumVgprs: 14
; ScratchSize: 0
; MemoryBound: 0
; FloatMode: 240
; IeeeMode: 1
; LDSByteSize: 0 bytes/workgroup (compile time only)
; SGPRBlocks: 2
; VGPRBlocks: 1
; NumSGPRsForWavesPerEU: 22
; NumVGPRsForWavesPerEU: 14
; AccumOffset: 16
; Occupancy: 8
; WaveLimiterHint : 0
; COMPUTE_PGM_RSRC2:SCRATCH_EN: 0
; COMPUTE_PGM_RSRC2:USER_SGPR: 2
; COMPUTE_PGM_RSRC2:TRAP_HANDLER: 0
; COMPUTE_PGM_RSRC2:TGID_X_EN: 1
; COMPUTE_PGM_RSRC2:TGID_Y_EN: 0
; COMPUTE_PGM_RSRC2:TGID_Z_EN: 0
; COMPUTE_PGM_RSRC2:TIDIG_COMP_CNT: 0
; COMPUTE_PGM_RSRC3_GFX90A:ACCUM_OFFSET: 3
; COMPUTE_PGM_RSRC3_GFX90A:TG_SPLIT: 0
	.section	.text._ZN4vllm18convert_fp8_kernelIhtLNS_18Fp8KVCacheDataTypeE1EEEvPKT0_PT_fl,"axG",@progbits,_ZN4vllm18convert_fp8_kernelIhtLNS_18Fp8KVCacheDataTypeE1EEEvPKT0_PT_fl,comdat
	.protected	_ZN4vllm18convert_fp8_kernelIhtLNS_18Fp8KVCacheDataTypeE1EEEvPKT0_PT_fl ; -- Begin function _ZN4vllm18convert_fp8_kernelIhtLNS_18Fp8KVCacheDataTypeE1EEEvPKT0_PT_fl
	.globl	_ZN4vllm18convert_fp8_kernelIhtLNS_18Fp8KVCacheDataTypeE1EEEvPKT0_PT_fl
	.p2align	8
	.type	_ZN4vllm18convert_fp8_kernelIhtLNS_18Fp8KVCacheDataTypeE1EEEvPKT0_PT_fl,@function
_ZN4vllm18convert_fp8_kernelIhtLNS_18Fp8KVCacheDataTypeE1EEEvPKT0_PT_fl: ; @_ZN4vllm18convert_fp8_kernelIhtLNS_18Fp8KVCacheDataTypeE1EEEvPKT0_PT_fl
; %bb.0:
	s_load_dwordx2 s[8:9], s[0:1], 0x18
	v_mov_b32_e32 v1, 0
	s_waitcnt lgkmcnt(0)
	v_cmp_gt_i64_e32 vcc, s[8:9], v[0:1]
	s_and_saveexec_b64 s[4:5], vcc
	s_cbranch_execz .LBB35_3
; %bb.1:
	s_load_dwordx4 s[4:7], s[0:1], 0x0
	s_load_dword s10, s[0:1], 0x10
	s_load_dword s3, s[0:1], 0x2c
	s_mul_i32 s0, s9, s2
	s_mul_hi_u32 s1, s8, s2
	s_add_i32 s1, s1, s0
	s_mul_i32 s0, s8, s2
	s_waitcnt lgkmcnt(0)
	s_and_b32 s11, s3, 0xffff
	v_add_u32_e32 v2, s11, v0
	s_mov_b64 s[2:3], 0
	s_mov_b32 s12, 0x7f800000
	s_mov_b32 s13, 0x43e00000
	v_mov_b32_e32 v4, 0xc3e00000
.LBB35_2:                               ; =>This Inner Loop Header: Depth=1
	v_lshl_add_u64 v[0:1], v[0:1], 0, s[0:1]
	v_lshl_add_u64 v[6:7], v[0:1], 1, s[4:5]
	global_load_ushort v3, v[6:7], off
	s_waitcnt vmcnt(0)
	v_cvt_f32_f16_e32 v3, v3
	v_div_scale_f32 v5, s[14:15], s10, s10, v3
	v_rcp_f32_e32 v6, v5
	v_div_scale_f32 v7, vcc, v3, s10, v3
	v_fma_f32 v8, -v5, v6, 1.0
	v_fmac_f32_e32 v6, v8, v6
	v_mul_f32_e32 v8, v7, v6
	v_fma_f32 v9, -v5, v8, v7
	v_fmac_f32_e32 v8, v9, v6
	v_fma_f32 v5, -v5, v8, v7
	v_div_fmas_f32 v5, v5, v6, v8
	v_div_fixup_f32 v3, v5, s10, v3
	v_cvt_f16_f32_e32 v5, v3
	v_mov_b32_e32 v8, 0
	v_ashrrev_i32_e32 v3, 31, v2
	v_lshl_add_u64 v[6:7], s[6:7], 0, v[0:1]
	v_cvt_f32_f16_e32 v5, v5
	v_mov_b64_e32 v[0:1], v[2:3]
	v_med3_f32 v9, v5, s13, v4
	v_cmp_nlg_f32_e64 vcc, |v5|, s12
	s_nop 1
	v_cndmask_b32_e32 v5, v9, v5, vcc
	v_cvt_pk_fp8_f32 v8, v5, v5
	v_cmp_le_i64_e32 vcc, s[8:9], v[2:3]
	v_add_u32_e32 v2, s11, v2
	s_or_b64 s[2:3], vcc, s[2:3]
	global_store_byte v[6:7], v8, off
	s_andn2_b64 exec, exec, s[2:3]
	s_cbranch_execnz .LBB35_2
.LBB35_3:
	s_endpgm
	.section	.rodata,"a",@progbits
	.p2align	6, 0x0
	.amdhsa_kernel _ZN4vllm18convert_fp8_kernelIhtLNS_18Fp8KVCacheDataTypeE1EEEvPKT0_PT_fl
		.amdhsa_group_segment_fixed_size 0
		.amdhsa_private_segment_fixed_size 0
		.amdhsa_kernarg_size 288
		.amdhsa_user_sgpr_count 2
		.amdhsa_user_sgpr_dispatch_ptr 0
		.amdhsa_user_sgpr_queue_ptr 0
		.amdhsa_user_sgpr_kernarg_segment_ptr 1
		.amdhsa_user_sgpr_dispatch_id 0
		.amdhsa_user_sgpr_kernarg_preload_length 0
		.amdhsa_user_sgpr_kernarg_preload_offset 0
		.amdhsa_user_sgpr_private_segment_size 0
		.amdhsa_uses_dynamic_stack 0
		.amdhsa_enable_private_segment 0
		.amdhsa_system_sgpr_workgroup_id_x 1
		.amdhsa_system_sgpr_workgroup_id_y 0
		.amdhsa_system_sgpr_workgroup_id_z 0
		.amdhsa_system_sgpr_workgroup_info 0
		.amdhsa_system_vgpr_workitem_id 0
		.amdhsa_next_free_vgpr 10
		.amdhsa_next_free_sgpr 16
		.amdhsa_accum_offset 12
		.amdhsa_reserve_vcc 1
		.amdhsa_float_round_mode_32 0
		.amdhsa_float_round_mode_16_64 0
		.amdhsa_float_denorm_mode_32 3
		.amdhsa_float_denorm_mode_16_64 3
		.amdhsa_dx10_clamp 1
		.amdhsa_ieee_mode 1
		.amdhsa_fp16_overflow 0
		.amdhsa_tg_split 0
		.amdhsa_exception_fp_ieee_invalid_op 0
		.amdhsa_exception_fp_denorm_src 0
		.amdhsa_exception_fp_ieee_div_zero 0
		.amdhsa_exception_fp_ieee_overflow 0
		.amdhsa_exception_fp_ieee_underflow 0
		.amdhsa_exception_fp_ieee_inexact 0
		.amdhsa_exception_int_div_zero 0
	.end_amdhsa_kernel
	.section	.text._ZN4vllm18convert_fp8_kernelIhtLNS_18Fp8KVCacheDataTypeE1EEEvPKT0_PT_fl,"axG",@progbits,_ZN4vllm18convert_fp8_kernelIhtLNS_18Fp8KVCacheDataTypeE1EEEvPKT0_PT_fl,comdat
.Lfunc_end35:
	.size	_ZN4vllm18convert_fp8_kernelIhtLNS_18Fp8KVCacheDataTypeE1EEEvPKT0_PT_fl, .Lfunc_end35-_ZN4vllm18convert_fp8_kernelIhtLNS_18Fp8KVCacheDataTypeE1EEEvPKT0_PT_fl
                                        ; -- End function
	.set _ZN4vllm18convert_fp8_kernelIhtLNS_18Fp8KVCacheDataTypeE1EEEvPKT0_PT_fl.num_vgpr, 10
	.set _ZN4vllm18convert_fp8_kernelIhtLNS_18Fp8KVCacheDataTypeE1EEEvPKT0_PT_fl.num_agpr, 0
	.set _ZN4vllm18convert_fp8_kernelIhtLNS_18Fp8KVCacheDataTypeE1EEEvPKT0_PT_fl.numbered_sgpr, 16
	.set _ZN4vllm18convert_fp8_kernelIhtLNS_18Fp8KVCacheDataTypeE1EEEvPKT0_PT_fl.num_named_barrier, 0
	.set _ZN4vllm18convert_fp8_kernelIhtLNS_18Fp8KVCacheDataTypeE1EEEvPKT0_PT_fl.private_seg_size, 0
	.set _ZN4vllm18convert_fp8_kernelIhtLNS_18Fp8KVCacheDataTypeE1EEEvPKT0_PT_fl.uses_vcc, 1
	.set _ZN4vllm18convert_fp8_kernelIhtLNS_18Fp8KVCacheDataTypeE1EEEvPKT0_PT_fl.uses_flat_scratch, 0
	.set _ZN4vllm18convert_fp8_kernelIhtLNS_18Fp8KVCacheDataTypeE1EEEvPKT0_PT_fl.has_dyn_sized_stack, 0
	.set _ZN4vllm18convert_fp8_kernelIhtLNS_18Fp8KVCacheDataTypeE1EEEvPKT0_PT_fl.has_recursion, 0
	.set _ZN4vllm18convert_fp8_kernelIhtLNS_18Fp8KVCacheDataTypeE1EEEvPKT0_PT_fl.has_indirect_call, 0
	.section	.AMDGPU.csdata,"",@progbits
; Kernel info:
; codeLenInByte = 308
; TotalNumSgprs: 22
; NumVgprs: 10
; NumAgprs: 0
; TotalNumVgprs: 10
; ScratchSize: 0
; MemoryBound: 0
; FloatMode: 240
; IeeeMode: 1
; LDSByteSize: 0 bytes/workgroup (compile time only)
; SGPRBlocks: 2
; VGPRBlocks: 1
; NumSGPRsForWavesPerEU: 22
; NumVGPRsForWavesPerEU: 10
; AccumOffset: 12
; Occupancy: 8
; WaveLimiterHint : 0
; COMPUTE_PGM_RSRC2:SCRATCH_EN: 0
; COMPUTE_PGM_RSRC2:USER_SGPR: 2
; COMPUTE_PGM_RSRC2:TRAP_HANDLER: 0
; COMPUTE_PGM_RSRC2:TGID_X_EN: 1
; COMPUTE_PGM_RSRC2:TGID_Y_EN: 0
; COMPUTE_PGM_RSRC2:TGID_Z_EN: 0
; COMPUTE_PGM_RSRC2:TIDIG_COMP_CNT: 0
; COMPUTE_PGM_RSRC3_GFX90A:ACCUM_OFFSET: 2
; COMPUTE_PGM_RSRC3_GFX90A:TG_SPLIT: 0
	.section	.text._ZN4vllm18convert_fp8_kernelIh14__hip_bfloat16LNS_18Fp8KVCacheDataTypeE1EEEvPKT0_PT_fl,"axG",@progbits,_ZN4vllm18convert_fp8_kernelIh14__hip_bfloat16LNS_18Fp8KVCacheDataTypeE1EEEvPKT0_PT_fl,comdat
	.protected	_ZN4vllm18convert_fp8_kernelIh14__hip_bfloat16LNS_18Fp8KVCacheDataTypeE1EEEvPKT0_PT_fl ; -- Begin function _ZN4vllm18convert_fp8_kernelIh14__hip_bfloat16LNS_18Fp8KVCacheDataTypeE1EEEvPKT0_PT_fl
	.globl	_ZN4vllm18convert_fp8_kernelIh14__hip_bfloat16LNS_18Fp8KVCacheDataTypeE1EEEvPKT0_PT_fl
	.p2align	8
	.type	_ZN4vllm18convert_fp8_kernelIh14__hip_bfloat16LNS_18Fp8KVCacheDataTypeE1EEEvPKT0_PT_fl,@function
_ZN4vllm18convert_fp8_kernelIh14__hip_bfloat16LNS_18Fp8KVCacheDataTypeE1EEEvPKT0_PT_fl: ; @_ZN4vllm18convert_fp8_kernelIh14__hip_bfloat16LNS_18Fp8KVCacheDataTypeE1EEEvPKT0_PT_fl
; %bb.0:
	s_load_dwordx2 s[8:9], s[0:1], 0x18
	v_mov_b32_e32 v1, 0
	s_waitcnt lgkmcnt(0)
	v_cmp_gt_i64_e32 vcc, s[8:9], v[0:1]
	s_and_saveexec_b64 s[4:5], vcc
	s_cbranch_execz .LBB36_3
; %bb.1:
	s_load_dwordx4 s[4:7], s[0:1], 0x0
	s_load_dword s10, s[0:1], 0x10
	s_load_dword s3, s[0:1], 0x2c
	s_mul_i32 s0, s9, s2
	s_mul_hi_u32 s1, s8, s2
	s_add_i32 s1, s1, s0
	s_mul_i32 s0, s8, s2
	s_waitcnt lgkmcnt(0)
	s_and_b32 s11, s3, 0xffff
	v_add_u32_e32 v2, s11, v0
	s_mov_b64 s[2:3], 0
	s_mov_b32 s12, 0x7f800000
	s_mov_b32 s13, 0x43e00000
	v_mov_b32_e32 v4, 0xc3e00000
.LBB36_2:                               ; =>This Inner Loop Header: Depth=1
	v_lshl_add_u64 v[0:1], v[0:1], 0, s[0:1]
	v_lshl_add_u64 v[6:7], v[0:1], 1, s[4:5]
	global_load_ushort v5, v[6:7], off
	v_mov_b32_e32 v8, 0
	v_ashrrev_i32_e32 v3, 31, v2
	v_lshl_add_u64 v[6:7], s[6:7], 0, v[0:1]
	v_mov_b64_e32 v[0:1], v[2:3]
	s_waitcnt vmcnt(0)
	v_lshlrev_b32_e32 v5, 16, v5
	v_div_scale_f32 v9, s[14:15], s10, s10, v5
	v_rcp_f32_e32 v10, v9
	v_div_scale_f32 v11, vcc, v5, s10, v5
	v_fma_f32 v12, -v9, v10, 1.0
	v_fmac_f32_e32 v10, v12, v10
	v_mul_f32_e32 v12, v11, v10
	v_fma_f32 v13, -v9, v12, v11
	v_fmac_f32_e32 v12, v13, v10
	v_fma_f32 v9, -v9, v12, v11
	v_div_fmas_f32 v9, v9, v10, v12
	v_div_fixup_f32 v5, v9, s10, v5
	v_med3_f32 v9, v5, s13, v4
	v_cmp_nlg_f32_e64 vcc, |v5|, s12
	s_nop 1
	v_cndmask_b32_e32 v5, v9, v5, vcc
	v_cvt_pk_fp8_f32 v8, v5, v5
	v_cmp_le_i64_e32 vcc, s[8:9], v[2:3]
	v_add_u32_e32 v2, s11, v2
	s_or_b64 s[2:3], vcc, s[2:3]
	global_store_byte v[6:7], v8, off
	s_andn2_b64 exec, exec, s[2:3]
	s_cbranch_execnz .LBB36_2
.LBB36_3:
	s_endpgm
	.section	.rodata,"a",@progbits
	.p2align	6, 0x0
	.amdhsa_kernel _ZN4vllm18convert_fp8_kernelIh14__hip_bfloat16LNS_18Fp8KVCacheDataTypeE1EEEvPKT0_PT_fl
		.amdhsa_group_segment_fixed_size 0
		.amdhsa_private_segment_fixed_size 0
		.amdhsa_kernarg_size 288
		.amdhsa_user_sgpr_count 2
		.amdhsa_user_sgpr_dispatch_ptr 0
		.amdhsa_user_sgpr_queue_ptr 0
		.amdhsa_user_sgpr_kernarg_segment_ptr 1
		.amdhsa_user_sgpr_dispatch_id 0
		.amdhsa_user_sgpr_kernarg_preload_length 0
		.amdhsa_user_sgpr_kernarg_preload_offset 0
		.amdhsa_user_sgpr_private_segment_size 0
		.amdhsa_uses_dynamic_stack 0
		.amdhsa_enable_private_segment 0
		.amdhsa_system_sgpr_workgroup_id_x 1
		.amdhsa_system_sgpr_workgroup_id_y 0
		.amdhsa_system_sgpr_workgroup_id_z 0
		.amdhsa_system_sgpr_workgroup_info 0
		.amdhsa_system_vgpr_workitem_id 0
		.amdhsa_next_free_vgpr 14
		.amdhsa_next_free_sgpr 16
		.amdhsa_accum_offset 16
		.amdhsa_reserve_vcc 1
		.amdhsa_float_round_mode_32 0
		.amdhsa_float_round_mode_16_64 0
		.amdhsa_float_denorm_mode_32 3
		.amdhsa_float_denorm_mode_16_64 3
		.amdhsa_dx10_clamp 1
		.amdhsa_ieee_mode 1
		.amdhsa_fp16_overflow 0
		.amdhsa_tg_split 0
		.amdhsa_exception_fp_ieee_invalid_op 0
		.amdhsa_exception_fp_denorm_src 0
		.amdhsa_exception_fp_ieee_div_zero 0
		.amdhsa_exception_fp_ieee_overflow 0
		.amdhsa_exception_fp_ieee_underflow 0
		.amdhsa_exception_fp_ieee_inexact 0
		.amdhsa_exception_int_div_zero 0
	.end_amdhsa_kernel
	.section	.text._ZN4vllm18convert_fp8_kernelIh14__hip_bfloat16LNS_18Fp8KVCacheDataTypeE1EEEvPKT0_PT_fl,"axG",@progbits,_ZN4vllm18convert_fp8_kernelIh14__hip_bfloat16LNS_18Fp8KVCacheDataTypeE1EEEvPKT0_PT_fl,comdat
.Lfunc_end36:
	.size	_ZN4vllm18convert_fp8_kernelIh14__hip_bfloat16LNS_18Fp8KVCacheDataTypeE1EEEvPKT0_PT_fl, .Lfunc_end36-_ZN4vllm18convert_fp8_kernelIh14__hip_bfloat16LNS_18Fp8KVCacheDataTypeE1EEEvPKT0_PT_fl
                                        ; -- End function
	.set _ZN4vllm18convert_fp8_kernelIh14__hip_bfloat16LNS_18Fp8KVCacheDataTypeE1EEEvPKT0_PT_fl.num_vgpr, 14
	.set _ZN4vllm18convert_fp8_kernelIh14__hip_bfloat16LNS_18Fp8KVCacheDataTypeE1EEEvPKT0_PT_fl.num_agpr, 0
	.set _ZN4vllm18convert_fp8_kernelIh14__hip_bfloat16LNS_18Fp8KVCacheDataTypeE1EEEvPKT0_PT_fl.numbered_sgpr, 16
	.set _ZN4vllm18convert_fp8_kernelIh14__hip_bfloat16LNS_18Fp8KVCacheDataTypeE1EEEvPKT0_PT_fl.num_named_barrier, 0
	.set _ZN4vllm18convert_fp8_kernelIh14__hip_bfloat16LNS_18Fp8KVCacheDataTypeE1EEEvPKT0_PT_fl.private_seg_size, 0
	.set _ZN4vllm18convert_fp8_kernelIh14__hip_bfloat16LNS_18Fp8KVCacheDataTypeE1EEEvPKT0_PT_fl.uses_vcc, 1
	.set _ZN4vllm18convert_fp8_kernelIh14__hip_bfloat16LNS_18Fp8KVCacheDataTypeE1EEEvPKT0_PT_fl.uses_flat_scratch, 0
	.set _ZN4vllm18convert_fp8_kernelIh14__hip_bfloat16LNS_18Fp8KVCacheDataTypeE1EEEvPKT0_PT_fl.has_dyn_sized_stack, 0
	.set _ZN4vllm18convert_fp8_kernelIh14__hip_bfloat16LNS_18Fp8KVCacheDataTypeE1EEEvPKT0_PT_fl.has_recursion, 0
	.set _ZN4vllm18convert_fp8_kernelIh14__hip_bfloat16LNS_18Fp8KVCacheDataTypeE1EEEvPKT0_PT_fl.has_indirect_call, 0
	.section	.AMDGPU.csdata,"",@progbits
; Kernel info:
; codeLenInByte = 300
; TotalNumSgprs: 22
; NumVgprs: 14
; NumAgprs: 0
; TotalNumVgprs: 14
; ScratchSize: 0
; MemoryBound: 0
; FloatMode: 240
; IeeeMode: 1
; LDSByteSize: 0 bytes/workgroup (compile time only)
; SGPRBlocks: 2
; VGPRBlocks: 1
; NumSGPRsForWavesPerEU: 22
; NumVGPRsForWavesPerEU: 14
; AccumOffset: 16
; Occupancy: 8
; WaveLimiterHint : 0
; COMPUTE_PGM_RSRC2:SCRATCH_EN: 0
; COMPUTE_PGM_RSRC2:USER_SGPR: 2
; COMPUTE_PGM_RSRC2:TRAP_HANDLER: 0
; COMPUTE_PGM_RSRC2:TGID_X_EN: 1
; COMPUTE_PGM_RSRC2:TGID_Y_EN: 0
; COMPUTE_PGM_RSRC2:TGID_Z_EN: 0
; COMPUTE_PGM_RSRC2:TIDIG_COMP_CNT: 0
; COMPUTE_PGM_RSRC3_GFX90A:ACCUM_OFFSET: 3
; COMPUTE_PGM_RSRC3_GFX90A:TG_SPLIT: 0
	.section	.text._ZN4vllm18convert_fp8_kernelIfhLNS_18Fp8KVCacheDataTypeE1EEEvPKT0_PT_fl,"axG",@progbits,_ZN4vllm18convert_fp8_kernelIfhLNS_18Fp8KVCacheDataTypeE1EEEvPKT0_PT_fl,comdat
	.protected	_ZN4vllm18convert_fp8_kernelIfhLNS_18Fp8KVCacheDataTypeE1EEEvPKT0_PT_fl ; -- Begin function _ZN4vllm18convert_fp8_kernelIfhLNS_18Fp8KVCacheDataTypeE1EEEvPKT0_PT_fl
	.globl	_ZN4vllm18convert_fp8_kernelIfhLNS_18Fp8KVCacheDataTypeE1EEEvPKT0_PT_fl
	.p2align	8
	.type	_ZN4vllm18convert_fp8_kernelIfhLNS_18Fp8KVCacheDataTypeE1EEEvPKT0_PT_fl,@function
_ZN4vllm18convert_fp8_kernelIfhLNS_18Fp8KVCacheDataTypeE1EEEvPKT0_PT_fl: ; @_ZN4vllm18convert_fp8_kernelIfhLNS_18Fp8KVCacheDataTypeE1EEEvPKT0_PT_fl
; %bb.0:
	s_load_dwordx2 s[8:9], s[0:1], 0x18
	v_mov_b32_e32 v1, 0
	s_waitcnt lgkmcnt(0)
	v_cmp_gt_i64_e32 vcc, s[8:9], v[0:1]
	s_and_saveexec_b64 s[4:5], vcc
	s_cbranch_execz .LBB37_3
; %bb.1:
	s_load_dwordx4 s[4:7], s[0:1], 0x0
	s_load_dword s10, s[0:1], 0x10
	s_load_dword s3, s[0:1], 0x2c
	s_mul_i32 s0, s9, s2
	s_mul_hi_u32 s1, s8, s2
	s_add_i32 s1, s1, s0
	s_mul_i32 s0, s8, s2
	s_waitcnt lgkmcnt(0)
	s_and_b32 s11, s3, 0xffff
	v_add_u32_e32 v2, s11, v0
	s_mov_b64 s[2:3], 0
.LBB37_2:                               ; =>This Inner Loop Header: Depth=1
	v_lshl_add_u64 v[0:1], v[0:1], 0, s[0:1]
	v_lshl_add_u64 v[4:5], s[4:5], 0, v[0:1]
	global_load_ubyte v6, v[4:5], off
	v_ashrrev_i32_e32 v3, 31, v2
	v_cmp_le_i64_e32 vcc, s[8:9], v[2:3]
	v_lshl_add_u64 v[4:5], v[0:1], 2, s[6:7]
	v_mov_b64_e32 v[0:1], v[2:3]
	v_add_u32_e32 v2, s11, v2
	s_or_b64 s[2:3], vcc, s[2:3]
	s_waitcnt vmcnt(0)
	v_cvt_f32_fp8_e32 v6, v6
	v_mul_f32_e32 v3, s10, v6
	global_store_dword v[4:5], v3, off
	s_andn2_b64 exec, exec, s[2:3]
	s_cbranch_execnz .LBB37_2
.LBB37_3:
	s_endpgm
	.section	.rodata,"a",@progbits
	.p2align	6, 0x0
	.amdhsa_kernel _ZN4vllm18convert_fp8_kernelIfhLNS_18Fp8KVCacheDataTypeE1EEEvPKT0_PT_fl
		.amdhsa_group_segment_fixed_size 0
		.amdhsa_private_segment_fixed_size 0
		.amdhsa_kernarg_size 288
		.amdhsa_user_sgpr_count 2
		.amdhsa_user_sgpr_dispatch_ptr 0
		.amdhsa_user_sgpr_queue_ptr 0
		.amdhsa_user_sgpr_kernarg_segment_ptr 1
		.amdhsa_user_sgpr_dispatch_id 0
		.amdhsa_user_sgpr_kernarg_preload_length 0
		.amdhsa_user_sgpr_kernarg_preload_offset 0
		.amdhsa_user_sgpr_private_segment_size 0
		.amdhsa_uses_dynamic_stack 0
		.amdhsa_enable_private_segment 0
		.amdhsa_system_sgpr_workgroup_id_x 1
		.amdhsa_system_sgpr_workgroup_id_y 0
		.amdhsa_system_sgpr_workgroup_id_z 0
		.amdhsa_system_sgpr_workgroup_info 0
		.amdhsa_system_vgpr_workitem_id 0
		.amdhsa_next_free_vgpr 7
		.amdhsa_next_free_sgpr 12
		.amdhsa_accum_offset 8
		.amdhsa_reserve_vcc 1
		.amdhsa_float_round_mode_32 0
		.amdhsa_float_round_mode_16_64 0
		.amdhsa_float_denorm_mode_32 3
		.amdhsa_float_denorm_mode_16_64 3
		.amdhsa_dx10_clamp 1
		.amdhsa_ieee_mode 1
		.amdhsa_fp16_overflow 0
		.amdhsa_tg_split 0
		.amdhsa_exception_fp_ieee_invalid_op 0
		.amdhsa_exception_fp_denorm_src 0
		.amdhsa_exception_fp_ieee_div_zero 0
		.amdhsa_exception_fp_ieee_overflow 0
		.amdhsa_exception_fp_ieee_underflow 0
		.amdhsa_exception_fp_ieee_inexact 0
		.amdhsa_exception_int_div_zero 0
	.end_amdhsa_kernel
	.section	.text._ZN4vllm18convert_fp8_kernelIfhLNS_18Fp8KVCacheDataTypeE1EEEvPKT0_PT_fl,"axG",@progbits,_ZN4vllm18convert_fp8_kernelIfhLNS_18Fp8KVCacheDataTypeE1EEEvPKT0_PT_fl,comdat
.Lfunc_end37:
	.size	_ZN4vllm18convert_fp8_kernelIfhLNS_18Fp8KVCacheDataTypeE1EEEvPKT0_PT_fl, .Lfunc_end37-_ZN4vllm18convert_fp8_kernelIfhLNS_18Fp8KVCacheDataTypeE1EEEvPKT0_PT_fl
                                        ; -- End function
	.set _ZN4vllm18convert_fp8_kernelIfhLNS_18Fp8KVCacheDataTypeE1EEEvPKT0_PT_fl.num_vgpr, 7
	.set _ZN4vllm18convert_fp8_kernelIfhLNS_18Fp8KVCacheDataTypeE1EEEvPKT0_PT_fl.num_agpr, 0
	.set _ZN4vllm18convert_fp8_kernelIfhLNS_18Fp8KVCacheDataTypeE1EEEvPKT0_PT_fl.numbered_sgpr, 12
	.set _ZN4vllm18convert_fp8_kernelIfhLNS_18Fp8KVCacheDataTypeE1EEEvPKT0_PT_fl.num_named_barrier, 0
	.set _ZN4vllm18convert_fp8_kernelIfhLNS_18Fp8KVCacheDataTypeE1EEEvPKT0_PT_fl.private_seg_size, 0
	.set _ZN4vllm18convert_fp8_kernelIfhLNS_18Fp8KVCacheDataTypeE1EEEvPKT0_PT_fl.uses_vcc, 1
	.set _ZN4vllm18convert_fp8_kernelIfhLNS_18Fp8KVCacheDataTypeE1EEEvPKT0_PT_fl.uses_flat_scratch, 0
	.set _ZN4vllm18convert_fp8_kernelIfhLNS_18Fp8KVCacheDataTypeE1EEEvPKT0_PT_fl.has_dyn_sized_stack, 0
	.set _ZN4vllm18convert_fp8_kernelIfhLNS_18Fp8KVCacheDataTypeE1EEEvPKT0_PT_fl.has_recursion, 0
	.set _ZN4vllm18convert_fp8_kernelIfhLNS_18Fp8KVCacheDataTypeE1EEEvPKT0_PT_fl.has_indirect_call, 0
	.section	.AMDGPU.csdata,"",@progbits
; Kernel info:
; codeLenInByte = 172
; TotalNumSgprs: 18
; NumVgprs: 7
; NumAgprs: 0
; TotalNumVgprs: 7
; ScratchSize: 0
; MemoryBound: 0
; FloatMode: 240
; IeeeMode: 1
; LDSByteSize: 0 bytes/workgroup (compile time only)
; SGPRBlocks: 2
; VGPRBlocks: 0
; NumSGPRsForWavesPerEU: 18
; NumVGPRsForWavesPerEU: 7
; AccumOffset: 8
; Occupancy: 8
; WaveLimiterHint : 0
; COMPUTE_PGM_RSRC2:SCRATCH_EN: 0
; COMPUTE_PGM_RSRC2:USER_SGPR: 2
; COMPUTE_PGM_RSRC2:TRAP_HANDLER: 0
; COMPUTE_PGM_RSRC2:TGID_X_EN: 1
; COMPUTE_PGM_RSRC2:TGID_Y_EN: 0
; COMPUTE_PGM_RSRC2:TGID_Z_EN: 0
; COMPUTE_PGM_RSRC2:TIDIG_COMP_CNT: 0
; COMPUTE_PGM_RSRC3_GFX90A:ACCUM_OFFSET: 1
; COMPUTE_PGM_RSRC3_GFX90A:TG_SPLIT: 0
	.section	.text._ZN4vllm18convert_fp8_kernelIthLNS_18Fp8KVCacheDataTypeE1EEEvPKT0_PT_fl,"axG",@progbits,_ZN4vllm18convert_fp8_kernelIthLNS_18Fp8KVCacheDataTypeE1EEEvPKT0_PT_fl,comdat
	.protected	_ZN4vllm18convert_fp8_kernelIthLNS_18Fp8KVCacheDataTypeE1EEEvPKT0_PT_fl ; -- Begin function _ZN4vllm18convert_fp8_kernelIthLNS_18Fp8KVCacheDataTypeE1EEEvPKT0_PT_fl
	.globl	_ZN4vllm18convert_fp8_kernelIthLNS_18Fp8KVCacheDataTypeE1EEEvPKT0_PT_fl
	.p2align	8
	.type	_ZN4vllm18convert_fp8_kernelIthLNS_18Fp8KVCacheDataTypeE1EEEvPKT0_PT_fl,@function
_ZN4vllm18convert_fp8_kernelIthLNS_18Fp8KVCacheDataTypeE1EEEvPKT0_PT_fl: ; @_ZN4vllm18convert_fp8_kernelIthLNS_18Fp8KVCacheDataTypeE1EEEvPKT0_PT_fl
; %bb.0:
	s_load_dwordx2 s[8:9], s[0:1], 0x18
	v_mov_b32_e32 v1, 0
	s_waitcnt lgkmcnt(0)
	v_cmp_gt_i64_e32 vcc, s[8:9], v[0:1]
	s_and_saveexec_b64 s[4:5], vcc
	s_cbranch_execz .LBB38_3
; %bb.1:
	s_load_dwordx4 s[4:7], s[0:1], 0x0
	s_load_dword s10, s[0:1], 0x10
	s_load_dword s3, s[0:1], 0x2c
	s_mul_i32 s0, s9, s2
	s_mul_hi_u32 s1, s8, s2
	s_add_i32 s1, s1, s0
	s_mul_i32 s0, s8, s2
	s_waitcnt lgkmcnt(0)
	s_and_b32 s11, s3, 0xffff
	v_add_u32_e32 v2, s11, v0
	s_mov_b64 s[2:3], 0
.LBB38_2:                               ; =>This Inner Loop Header: Depth=1
	v_lshl_add_u64 v[0:1], v[0:1], 0, s[0:1]
	v_lshl_add_u64 v[4:5], s[4:5], 0, v[0:1]
	global_load_ubyte v6, v[4:5], off
	v_ashrrev_i32_e32 v3, 31, v2
	v_cmp_le_i64_e32 vcc, s[8:9], v[2:3]
	v_lshl_add_u64 v[4:5], v[0:1], 1, s[6:7]
	v_mov_b64_e32 v[0:1], v[2:3]
	v_add_u32_e32 v2, s11, v2
	s_or_b64 s[2:3], vcc, s[2:3]
	s_waitcnt vmcnt(0)
	v_cvt_f32_fp8_e32 v6, v6
	v_fma_mixlo_f16 v3, s10, v6, 0
	global_store_short v[4:5], v3, off
	s_andn2_b64 exec, exec, s[2:3]
	s_cbranch_execnz .LBB38_2
.LBB38_3:
	s_endpgm
	.section	.rodata,"a",@progbits
	.p2align	6, 0x0
	.amdhsa_kernel _ZN4vllm18convert_fp8_kernelIthLNS_18Fp8KVCacheDataTypeE1EEEvPKT0_PT_fl
		.amdhsa_group_segment_fixed_size 0
		.amdhsa_private_segment_fixed_size 0
		.amdhsa_kernarg_size 288
		.amdhsa_user_sgpr_count 2
		.amdhsa_user_sgpr_dispatch_ptr 0
		.amdhsa_user_sgpr_queue_ptr 0
		.amdhsa_user_sgpr_kernarg_segment_ptr 1
		.amdhsa_user_sgpr_dispatch_id 0
		.amdhsa_user_sgpr_kernarg_preload_length 0
		.amdhsa_user_sgpr_kernarg_preload_offset 0
		.amdhsa_user_sgpr_private_segment_size 0
		.amdhsa_uses_dynamic_stack 0
		.amdhsa_enable_private_segment 0
		.amdhsa_system_sgpr_workgroup_id_x 1
		.amdhsa_system_sgpr_workgroup_id_y 0
		.amdhsa_system_sgpr_workgroup_id_z 0
		.amdhsa_system_sgpr_workgroup_info 0
		.amdhsa_system_vgpr_workitem_id 0
		.amdhsa_next_free_vgpr 7
		.amdhsa_next_free_sgpr 12
		.amdhsa_accum_offset 8
		.amdhsa_reserve_vcc 1
		.amdhsa_float_round_mode_32 0
		.amdhsa_float_round_mode_16_64 0
		.amdhsa_float_denorm_mode_32 3
		.amdhsa_float_denorm_mode_16_64 3
		.amdhsa_dx10_clamp 1
		.amdhsa_ieee_mode 1
		.amdhsa_fp16_overflow 0
		.amdhsa_tg_split 0
		.amdhsa_exception_fp_ieee_invalid_op 0
		.amdhsa_exception_fp_denorm_src 0
		.amdhsa_exception_fp_ieee_div_zero 0
		.amdhsa_exception_fp_ieee_overflow 0
		.amdhsa_exception_fp_ieee_underflow 0
		.amdhsa_exception_fp_ieee_inexact 0
		.amdhsa_exception_int_div_zero 0
	.end_amdhsa_kernel
	.section	.text._ZN4vllm18convert_fp8_kernelIthLNS_18Fp8KVCacheDataTypeE1EEEvPKT0_PT_fl,"axG",@progbits,_ZN4vllm18convert_fp8_kernelIthLNS_18Fp8KVCacheDataTypeE1EEEvPKT0_PT_fl,comdat
.Lfunc_end38:
	.size	_ZN4vllm18convert_fp8_kernelIthLNS_18Fp8KVCacheDataTypeE1EEEvPKT0_PT_fl, .Lfunc_end38-_ZN4vllm18convert_fp8_kernelIthLNS_18Fp8KVCacheDataTypeE1EEEvPKT0_PT_fl
                                        ; -- End function
	.set _ZN4vllm18convert_fp8_kernelIthLNS_18Fp8KVCacheDataTypeE1EEEvPKT0_PT_fl.num_vgpr, 7
	.set _ZN4vllm18convert_fp8_kernelIthLNS_18Fp8KVCacheDataTypeE1EEEvPKT0_PT_fl.num_agpr, 0
	.set _ZN4vllm18convert_fp8_kernelIthLNS_18Fp8KVCacheDataTypeE1EEEvPKT0_PT_fl.numbered_sgpr, 12
	.set _ZN4vllm18convert_fp8_kernelIthLNS_18Fp8KVCacheDataTypeE1EEEvPKT0_PT_fl.num_named_barrier, 0
	.set _ZN4vllm18convert_fp8_kernelIthLNS_18Fp8KVCacheDataTypeE1EEEvPKT0_PT_fl.private_seg_size, 0
	.set _ZN4vllm18convert_fp8_kernelIthLNS_18Fp8KVCacheDataTypeE1EEEvPKT0_PT_fl.uses_vcc, 1
	.set _ZN4vllm18convert_fp8_kernelIthLNS_18Fp8KVCacheDataTypeE1EEEvPKT0_PT_fl.uses_flat_scratch, 0
	.set _ZN4vllm18convert_fp8_kernelIthLNS_18Fp8KVCacheDataTypeE1EEEvPKT0_PT_fl.has_dyn_sized_stack, 0
	.set _ZN4vllm18convert_fp8_kernelIthLNS_18Fp8KVCacheDataTypeE1EEEvPKT0_PT_fl.has_recursion, 0
	.set _ZN4vllm18convert_fp8_kernelIthLNS_18Fp8KVCacheDataTypeE1EEEvPKT0_PT_fl.has_indirect_call, 0
	.section	.AMDGPU.csdata,"",@progbits
; Kernel info:
; codeLenInByte = 176
; TotalNumSgprs: 18
; NumVgprs: 7
; NumAgprs: 0
; TotalNumVgprs: 7
; ScratchSize: 0
; MemoryBound: 0
; FloatMode: 240
; IeeeMode: 1
; LDSByteSize: 0 bytes/workgroup (compile time only)
; SGPRBlocks: 2
; VGPRBlocks: 0
; NumSGPRsForWavesPerEU: 18
; NumVGPRsForWavesPerEU: 7
; AccumOffset: 8
; Occupancy: 8
; WaveLimiterHint : 0
; COMPUTE_PGM_RSRC2:SCRATCH_EN: 0
; COMPUTE_PGM_RSRC2:USER_SGPR: 2
; COMPUTE_PGM_RSRC2:TRAP_HANDLER: 0
; COMPUTE_PGM_RSRC2:TGID_X_EN: 1
; COMPUTE_PGM_RSRC2:TGID_Y_EN: 0
; COMPUTE_PGM_RSRC2:TGID_Z_EN: 0
; COMPUTE_PGM_RSRC2:TIDIG_COMP_CNT: 0
; COMPUTE_PGM_RSRC3_GFX90A:ACCUM_OFFSET: 1
; COMPUTE_PGM_RSRC3_GFX90A:TG_SPLIT: 0
	.section	.text._ZN4vllm18convert_fp8_kernelI14__hip_bfloat16hLNS_18Fp8KVCacheDataTypeE1EEEvPKT0_PT_fl,"axG",@progbits,_ZN4vllm18convert_fp8_kernelI14__hip_bfloat16hLNS_18Fp8KVCacheDataTypeE1EEEvPKT0_PT_fl,comdat
	.protected	_ZN4vllm18convert_fp8_kernelI14__hip_bfloat16hLNS_18Fp8KVCacheDataTypeE1EEEvPKT0_PT_fl ; -- Begin function _ZN4vllm18convert_fp8_kernelI14__hip_bfloat16hLNS_18Fp8KVCacheDataTypeE1EEEvPKT0_PT_fl
	.globl	_ZN4vllm18convert_fp8_kernelI14__hip_bfloat16hLNS_18Fp8KVCacheDataTypeE1EEEvPKT0_PT_fl
	.p2align	8
	.type	_ZN4vllm18convert_fp8_kernelI14__hip_bfloat16hLNS_18Fp8KVCacheDataTypeE1EEEvPKT0_PT_fl,@function
_ZN4vllm18convert_fp8_kernelI14__hip_bfloat16hLNS_18Fp8KVCacheDataTypeE1EEEvPKT0_PT_fl: ; @_ZN4vllm18convert_fp8_kernelI14__hip_bfloat16hLNS_18Fp8KVCacheDataTypeE1EEEvPKT0_PT_fl
; %bb.0:
	s_load_dwordx2 s[8:9], s[0:1], 0x18
	v_mov_b32_e32 v1, 0
	s_waitcnt lgkmcnt(0)
	v_cmp_gt_i64_e32 vcc, s[8:9], v[0:1]
	s_and_saveexec_b64 s[4:5], vcc
	s_cbranch_execz .LBB39_3
; %bb.1:
	s_load_dwordx4 s[4:7], s[0:1], 0x0
	s_load_dword s10, s[0:1], 0x10
	s_load_dword s3, s[0:1], 0x2c
	s_mul_i32 s0, s9, s2
	s_mul_hi_u32 s1, s8, s2
	s_add_i32 s1, s1, s0
	s_mul_i32 s0, s8, s2
	s_waitcnt lgkmcnt(0)
	s_and_b32 s11, s3, 0xffff
	v_add_u32_e32 v2, s11, v0
	s_mov_b64 s[2:3], 0
.LBB39_2:                               ; =>This Inner Loop Header: Depth=1
	v_lshl_add_u64 v[0:1], v[0:1], 0, s[0:1]
	v_lshl_add_u64 v[4:5], s[4:5], 0, v[0:1]
	global_load_ubyte v6, v[4:5], off
	v_ashrrev_i32_e32 v3, 31, v2
	v_lshl_add_u64 v[4:5], v[0:1], 1, s[6:7]
	v_mov_b64_e32 v[0:1], v[2:3]
	v_cmp_le_i64_e32 vcc, s[8:9], v[2:3]
	v_add_u32_e32 v2, s11, v2
	s_or_b64 s[2:3], vcc, s[2:3]
	s_waitcnt vmcnt(0)
	v_cvt_f32_fp8_e32 v6, v6
	v_mul_f32_e32 v3, s10, v6
	v_cvt_pk_bf16_f32 v3, v3, s0
	global_store_short v[4:5], v3, off
	s_andn2_b64 exec, exec, s[2:3]
	s_cbranch_execnz .LBB39_2
.LBB39_3:
	s_endpgm
	.section	.rodata,"a",@progbits
	.p2align	6, 0x0
	.amdhsa_kernel _ZN4vllm18convert_fp8_kernelI14__hip_bfloat16hLNS_18Fp8KVCacheDataTypeE1EEEvPKT0_PT_fl
		.amdhsa_group_segment_fixed_size 0
		.amdhsa_private_segment_fixed_size 0
		.amdhsa_kernarg_size 288
		.amdhsa_user_sgpr_count 2
		.amdhsa_user_sgpr_dispatch_ptr 0
		.amdhsa_user_sgpr_queue_ptr 0
		.amdhsa_user_sgpr_kernarg_segment_ptr 1
		.amdhsa_user_sgpr_dispatch_id 0
		.amdhsa_user_sgpr_kernarg_preload_length 0
		.amdhsa_user_sgpr_kernarg_preload_offset 0
		.amdhsa_user_sgpr_private_segment_size 0
		.amdhsa_uses_dynamic_stack 0
		.amdhsa_enable_private_segment 0
		.amdhsa_system_sgpr_workgroup_id_x 1
		.amdhsa_system_sgpr_workgroup_id_y 0
		.amdhsa_system_sgpr_workgroup_id_z 0
		.amdhsa_system_sgpr_workgroup_info 0
		.amdhsa_system_vgpr_workitem_id 0
		.amdhsa_next_free_vgpr 7
		.amdhsa_next_free_sgpr 12
		.amdhsa_accum_offset 8
		.amdhsa_reserve_vcc 1
		.amdhsa_float_round_mode_32 0
		.amdhsa_float_round_mode_16_64 0
		.amdhsa_float_denorm_mode_32 3
		.amdhsa_float_denorm_mode_16_64 3
		.amdhsa_dx10_clamp 1
		.amdhsa_ieee_mode 1
		.amdhsa_fp16_overflow 0
		.amdhsa_tg_split 0
		.amdhsa_exception_fp_ieee_invalid_op 0
		.amdhsa_exception_fp_denorm_src 0
		.amdhsa_exception_fp_ieee_div_zero 0
		.amdhsa_exception_fp_ieee_overflow 0
		.amdhsa_exception_fp_ieee_underflow 0
		.amdhsa_exception_fp_ieee_inexact 0
		.amdhsa_exception_int_div_zero 0
	.end_amdhsa_kernel
	.section	.text._ZN4vllm18convert_fp8_kernelI14__hip_bfloat16hLNS_18Fp8KVCacheDataTypeE1EEEvPKT0_PT_fl,"axG",@progbits,_ZN4vllm18convert_fp8_kernelI14__hip_bfloat16hLNS_18Fp8KVCacheDataTypeE1EEEvPKT0_PT_fl,comdat
.Lfunc_end39:
	.size	_ZN4vllm18convert_fp8_kernelI14__hip_bfloat16hLNS_18Fp8KVCacheDataTypeE1EEEvPKT0_PT_fl, .Lfunc_end39-_ZN4vllm18convert_fp8_kernelI14__hip_bfloat16hLNS_18Fp8KVCacheDataTypeE1EEEvPKT0_PT_fl
                                        ; -- End function
	.set _ZN4vllm18convert_fp8_kernelI14__hip_bfloat16hLNS_18Fp8KVCacheDataTypeE1EEEvPKT0_PT_fl.num_vgpr, 7
	.set _ZN4vllm18convert_fp8_kernelI14__hip_bfloat16hLNS_18Fp8KVCacheDataTypeE1EEEvPKT0_PT_fl.num_agpr, 0
	.set _ZN4vllm18convert_fp8_kernelI14__hip_bfloat16hLNS_18Fp8KVCacheDataTypeE1EEEvPKT0_PT_fl.numbered_sgpr, 12
	.set _ZN4vllm18convert_fp8_kernelI14__hip_bfloat16hLNS_18Fp8KVCacheDataTypeE1EEEvPKT0_PT_fl.num_named_barrier, 0
	.set _ZN4vllm18convert_fp8_kernelI14__hip_bfloat16hLNS_18Fp8KVCacheDataTypeE1EEEvPKT0_PT_fl.private_seg_size, 0
	.set _ZN4vllm18convert_fp8_kernelI14__hip_bfloat16hLNS_18Fp8KVCacheDataTypeE1EEEvPKT0_PT_fl.uses_vcc, 1
	.set _ZN4vllm18convert_fp8_kernelI14__hip_bfloat16hLNS_18Fp8KVCacheDataTypeE1EEEvPKT0_PT_fl.uses_flat_scratch, 0
	.set _ZN4vllm18convert_fp8_kernelI14__hip_bfloat16hLNS_18Fp8KVCacheDataTypeE1EEEvPKT0_PT_fl.has_dyn_sized_stack, 0
	.set _ZN4vllm18convert_fp8_kernelI14__hip_bfloat16hLNS_18Fp8KVCacheDataTypeE1EEEvPKT0_PT_fl.has_recursion, 0
	.set _ZN4vllm18convert_fp8_kernelI14__hip_bfloat16hLNS_18Fp8KVCacheDataTypeE1EEEvPKT0_PT_fl.has_indirect_call, 0
	.section	.AMDGPU.csdata,"",@progbits
; Kernel info:
; codeLenInByte = 180
; TotalNumSgprs: 18
; NumVgprs: 7
; NumAgprs: 0
; TotalNumVgprs: 7
; ScratchSize: 0
; MemoryBound: 0
; FloatMode: 240
; IeeeMode: 1
; LDSByteSize: 0 bytes/workgroup (compile time only)
; SGPRBlocks: 2
; VGPRBlocks: 0
; NumSGPRsForWavesPerEU: 18
; NumVGPRsForWavesPerEU: 7
; AccumOffset: 8
; Occupancy: 8
; WaveLimiterHint : 0
; COMPUTE_PGM_RSRC2:SCRATCH_EN: 0
; COMPUTE_PGM_RSRC2:USER_SGPR: 2
; COMPUTE_PGM_RSRC2:TRAP_HANDLER: 0
; COMPUTE_PGM_RSRC2:TGID_X_EN: 1
; COMPUTE_PGM_RSRC2:TGID_Y_EN: 0
; COMPUTE_PGM_RSRC2:TGID_Z_EN: 0
; COMPUTE_PGM_RSRC2:TIDIG_COMP_CNT: 0
; COMPUTE_PGM_RSRC3_GFX90A:ACCUM_OFFSET: 1
; COMPUTE_PGM_RSRC3_GFX90A:TG_SPLIT: 0
	.section	.text._ZN4vllm30gather_and_maybe_dequant_cacheIffLNS_18Fp8KVCacheDataTypeE0EEEvPKT0_PT_PKiS8_iillllPKfS8_,"axG",@progbits,_ZN4vllm30gather_and_maybe_dequant_cacheIffLNS_18Fp8KVCacheDataTypeE0EEEvPKT0_PT_PKiS8_iillllPKfS8_,comdat
	.protected	_ZN4vllm30gather_and_maybe_dequant_cacheIffLNS_18Fp8KVCacheDataTypeE0EEEvPKT0_PT_PKiS8_iillllPKfS8_ ; -- Begin function _ZN4vllm30gather_and_maybe_dequant_cacheIffLNS_18Fp8KVCacheDataTypeE0EEEvPKT0_PT_PKiS8_iillllPKfS8_
	.globl	_ZN4vllm30gather_and_maybe_dequant_cacheIffLNS_18Fp8KVCacheDataTypeE0EEEvPKT0_PT_PKiS8_iillllPKfS8_
	.p2align	8
	.type	_ZN4vllm30gather_and_maybe_dequant_cacheIffLNS_18Fp8KVCacheDataTypeE0EEEvPKT0_PT_PKiS8_iillllPKfS8_,@function
_ZN4vllm30gather_and_maybe_dequant_cacheIffLNS_18Fp8KVCacheDataTypeE0EEEvPKT0_PT_PKiS8_iillllPKfS8_: ; @_ZN4vllm30gather_and_maybe_dequant_cacheIffLNS_18Fp8KVCacheDataTypeE0EEEvPKT0_PT_PKiS8_iillllPKfS8_
; %bb.0:
	s_load_dwordx4 s[12:15], s[0:1], 0x18
	s_load_dword s5, s[0:1], 0x5c
	s_mov_b32 s4, s3
	s_mov_b32 s3, 0
	s_add_u32 s20, s0, 0x58
	s_addc_u32 s21, s1, 0
	s_lshl_b64 s[6:7], s[2:3], 2
	s_waitcnt lgkmcnt(0)
	s_add_u32 s8, s12, s6
	s_addc_u32 s9, s13, s7
	s_abs_i32 s3, s14
	v_cvt_f32_u32_e32 v1, s3
	s_load_dwordx2 s[26:27], s[8:9], 0x0
	s_ashr_i32 s10, s14, 31
	v_rcp_iflag_f32_e32 v1, v1
	s_waitcnt lgkmcnt(0)
	s_sub_i32 s8, s27, s26
	s_add_i32 s9, s14, s8
	v_mul_f32_e32 v1, 0x4f7ffffe, v1
	v_cvt_u32_f32_e32 v1, v1
	s_add_i32 s9, s9, -1
	s_ashr_i32 s11, s9, 31
	s_abs_i32 s12, s9
	s_sub_i32 s9, 0, s3
	v_readfirstlane_b32 s13, v1
	s_mul_i32 s9, s9, s13
	s_mul_hi_u32 s9, s13, s9
	s_add_i32 s9, s13, s9
	s_mul_hi_u32 s13, s12, s9
	s_mul_i32 s16, s13, s3
	s_sub_i32 s12, s12, s16
	s_xor_b32 s11, s11, s10
	s_add_i32 s16, s13, 1
	s_sub_i32 s17, s12, s3
	s_cmp_ge_u32 s12, s3
	s_cselect_b32 s13, s16, s13
	s_cselect_b32 s12, s17, s12
	s_add_i32 s16, s13, 1
	s_cmp_ge_u32 s12, s3
	s_cselect_b32 s12, s16, s13
	s_abs_i32 s13, s5
	v_cvt_f32_u32_e32 v1, s13
	s_xor_b32 s12, s12, s11
	s_sub_i32 s11, s12, s11
	s_sub_i32 s16, 0, s13
	v_rcp_iflag_f32_e32 v1, v1
	s_add_i32 s12, s5, s11
	s_add_i32 s12, s12, -1
	s_xor_b32 s5, s12, s5
	v_mul_f32_e32 v1, 0x4f7ffffe, v1
	v_cvt_u32_f32_e32 v1, v1
	s_abs_i32 s12, s12
	s_ashr_i32 s5, s5, 31
	v_readfirstlane_b32 s17, v1
	s_mul_i32 s16, s16, s17
	s_mul_hi_u32 s16, s17, s16
	s_add_i32 s17, s17, s16
	s_mul_hi_u32 s16, s12, s17
	s_mul_i32 s17, s16, s13
	s_sub_i32 s12, s12, s17
	s_add_i32 s17, s16, 1
	s_sub_i32 s18, s12, s13
	s_cmp_ge_u32 s12, s13
	s_cselect_b32 s16, s17, s16
	s_cselect_b32 s12, s18, s12
	s_add_i32 s17, s16, 1
	s_cmp_ge_u32 s12, s13
	s_cselect_b32 s12, s17, s16
	s_xor_b32 s12, s12, s5
	s_sub_i32 s13, s12, s5
	s_mul_i32 s12, s13, s4
	s_cmp_ge_i32 s12, s11
	s_cbranch_scc1 .LBB40_21
; %bb.1:
	s_load_dwordx2 s[4:5], s[0:1], 0x50
	s_load_dwordx4 s[16:19], s[0:1], 0x8
	s_mov_b64 s[28:29], 0
	s_waitcnt lgkmcnt(0)
	s_cmp_eq_u64 s[4:5], 0
	s_cbranch_scc1 .LBB40_3
; %bb.2:
	s_add_u32 s4, s4, s6
	s_addc_u32 s5, s5, s7
	s_load_dword s4, s[4:5], 0x0
	s_waitcnt lgkmcnt(0)
	s_ashr_i32 s5, s4, 31
	s_abs_i32 s4, s4
	s_mul_hi_u32 s6, s4, s9
	s_mul_i32 s7, s6, s3
	s_sub_i32 s4, s4, s7
	s_xor_b32 s5, s5, s10
	s_add_i32 s10, s6, 1
	s_sub_i32 s7, s4, s3
	s_cmp_ge_u32 s4, s3
	s_cselect_b32 s6, s10, s6
	s_cselect_b32 s4, s7, s4
	s_add_i32 s7, s6, 1
	s_cmp_ge_u32 s4, s3
	s_cselect_b32 s4, s7, s6
	s_xor_b32 s4, s4, s5
	s_sub_i32 s28, s4, s5
	s_ashr_i32 s29, s28, 31
.LBB40_3:
	s_load_dwordx2 s[22:23], s[0:1], 0x0
	s_add_i32 s4, s12, s13
	s_min_i32 s24, s4, s11
	s_cmp_gt_i32 s11, s4
	s_mov_b32 s30, 0
	s_cbranch_scc1 .LBB40_5
; %bb.4:
	s_abs_i32 s5, s8
	s_mul_hi_u32 s6, s5, s9
	s_mul_i32 s6, s6, s3
	s_sub_i32 s5, s5, s6
	s_ashr_i32 s4, s8, 31
	s_sub_i32 s6, s5, s3
	s_cmp_ge_u32 s5, s3
	s_cselect_b32 s5, s6, s5
	s_sub_i32 s6, s5, s3
	s_cmp_ge_u32 s5, s3
	s_cselect_b32 s3, s6, s5
	s_xor_b32 s3, s3, s4
	s_sub_i32 s30, s3, s4
	s_cmp_lg_u32 s30, 0
	s_cselect_b64 s[4:5], -1, 0
	s_cmp_lg_u64 s[4:5], 0
	s_subb_u32 s24, s24, 0
.LBB40_5:
	s_load_dwordx8 s[4:11], s[0:1], 0x28
	s_waitcnt lgkmcnt(0)
	s_mul_i32 s0, s2, s4
	s_ashr_i32 s1, s0, 31
	s_lshl_b64 s[0:1], s[0:1], 2
	s_add_u32 s4, s18, s0
	s_addc_u32 s5, s19, s1
	s_lshl_b64 s[0:1], s[28:29], 2
	s_add_u32 s31, s4, s0
	s_addc_u32 s33, s5, s1
	s_ashr_i32 s0, s26, 31
	s_mul_hi_u32 s2, s10, s26
	s_mul_i32 s0, s10, s0
	s_mul_i32 s3, s11, s26
	s_add_i32 s0, s2, s0
	s_add_i32 s1, s0, s3
	s_mul_i32 s0, s10, s26
	s_lshl_b64 s[0:1], s[0:1], 2
	s_add_u32 s28, s16, s0
	s_addc_u32 s29, s17, s1
	s_cmp_ge_i32 s12, s24
	s_cbranch_scc1 .LBB40_14
; %bb.6:
	s_cmp_gt_i32 s14, 0
	s_cselect_b64 s[2:3], -1, 0
	v_cndmask_b32_e64 v1, 0, 1, s[2:3]
	v_cmp_gt_i32_e64 s[0:1], s15, v0
	v_cmp_ne_u32_e64 s[2:3], 1, v1
	s_branch .LBB40_8
.LBB40_7:                               ;   in Loop: Header=BB40_8 Depth=1
	s_add_i32 s12, s12, 1
	s_cmp_ge_i32 s12, s24
	s_cbranch_scc1 .LBB40_14
.LBB40_8:                               ; =>This Loop Header: Depth=1
                                        ;     Child Loop BB40_11 Depth 2
                                        ;       Child Loop BB40_13 Depth 3
	s_and_b64 vcc, exec, s[2:3]
	s_cbranch_vccnz .LBB40_7
; %bb.9:                                ;   in Loop: Header=BB40_8 Depth=1
	s_ashr_i32 s13, s12, 31
	s_lshl_b64 s[4:5], s[12:13], 2
	s_add_u32 s4, s31, s4
	s_addc_u32 s5, s33, s5
	s_load_dword s4, s[4:5], 0x0
	s_mul_i32 s16, s12, s14
	s_mov_b32 s36, 0
	s_waitcnt lgkmcnt(0)
	s_ashr_i32 s5, s4, 31
	s_mul_hi_u32 s13, s6, s4
	s_mul_i32 s5, s6, s5
	s_mul_i32 s17, s7, s4
	s_add_i32 s5, s13, s5
	s_mul_i32 s4, s6, s4
	s_add_i32 s5, s5, s17
	s_lshl_b64 s[4:5], s[4:5], 2
	s_add_u32 s13, s22, s4
	s_addc_u32 s25, s23, s5
	s_ashr_i32 s4, s16, 31
	s_mul_i32 s4, s10, s4
	s_mul_hi_u32 s5, s10, s16
	s_add_i32 s4, s5, s4
	s_mul_i32 s5, s11, s16
	s_add_i32 s5, s4, s5
	s_mul_i32 s4, s10, s16
	s_lshl_b64 s[4:5], s[4:5], 2
	s_add_u32 s34, s28, s4
	s_addc_u32 s35, s29, s5
	s_branch .LBB40_11
.LBB40_10:                              ;   in Loop: Header=BB40_11 Depth=2
	s_or_b64 exec, exec, s[4:5]
	s_add_i32 s36, s36, 1
	s_cmp_eq_u32 s36, s14
	s_cbranch_scc1 .LBB40_7
.LBB40_11:                              ;   Parent Loop BB40_8 Depth=1
                                        ; =>  This Loop Header: Depth=2
                                        ;       Child Loop BB40_13 Depth 3
	s_and_saveexec_b64 s[4:5], s[0:1]
	s_cbranch_execz .LBB40_10
; %bb.12:                               ;   in Loop: Header=BB40_11 Depth=2
	s_mul_i32 s16, s9, s36
	s_mul_hi_u32 s17, s8, s36
	s_add_i32 s17, s17, s16
	s_mul_i32 s16, s8, s36
	s_lshl_b64 s[16:17], s[16:17], 2
	s_load_dword s26, s[20:21], 0xc
	s_add_u32 s16, s13, s16
	s_mul_i32 s18, s11, s36
	s_mul_hi_u32 s19, s10, s36
	s_addc_u32 s17, s25, s17
	s_add_i32 s19, s19, s18
	s_mul_i32 s18, s10, s36
	s_lshl_b64 s[18:19], s[18:19], 2
	s_add_u32 s18, s34, s18
	s_addc_u32 s19, s35, s19
	s_waitcnt lgkmcnt(0)
	s_and_b32 s37, s26, 0xffff
	s_mov_b64 s[26:27], 0
	v_mov_b32_e32 v2, v0
.LBB40_13:                              ;   Parent Loop BB40_8 Depth=1
                                        ;     Parent Loop BB40_11 Depth=2
                                        ; =>    This Inner Loop Header: Depth=3
	v_ashrrev_i32_e32 v3, 31, v2
	v_lshlrev_b64 v[4:5], 2, v[2:3]
	v_lshl_add_u64 v[6:7], s[16:17], 0, v[4:5]
	global_load_dword v1, v[6:7], off
	v_add_u32_e32 v2, s37, v2
	v_cmp_le_i32_e32 vcc, s15, v2
	v_lshl_add_u64 v[4:5], s[18:19], 0, v[4:5]
	s_or_b64 s[26:27], vcc, s[26:27]
	s_waitcnt vmcnt(0)
	global_store_dword v[4:5], v1, off
	s_andn2_b64 exec, exec, s[26:27]
	s_cbranch_execnz .LBB40_13
	s_branch .LBB40_10
.LBB40_14:
	s_cmp_lg_u32 s30, 0
	s_cbranch_scc0 .LBB40_21
; %bb.15:
	s_cmp_lt_i32 s30, 1
	s_cbranch_scc1 .LBB40_21
; %bb.16:
	s_ashr_i32 s25, s24, 31
	s_lshl_b64 s[0:1], s[24:25], 2
	s_add_u32 s0, s31, s0
	s_addc_u32 s1, s33, s1
	s_load_dword s0, s[0:1], 0x0
	s_mul_i32 s2, s24, s14
	v_cmp_gt_i32_e32 vcc, s15, v0
	s_mov_b32 s19, 0
	s_waitcnt lgkmcnt(0)
	s_ashr_i32 s1, s0, 31
	s_mul_hi_u32 s3, s6, s0
	s_mul_i32 s1, s6, s1
	s_mul_i32 s4, s7, s0
	s_add_i32 s1, s3, s1
	s_mul_i32 s0, s6, s0
	s_add_i32 s1, s1, s4
	s_lshl_b64 s[0:1], s[0:1], 2
	s_add_u32 s14, s22, s0
	s_addc_u32 s16, s23, s1
	s_ashr_i32 s0, s2, 31
	s_mul_i32 s0, s10, s0
	s_mul_hi_u32 s1, s10, s2
	s_add_i32 s0, s1, s0
	s_mul_i32 s1, s11, s2
	s_add_i32 s1, s0, s1
	s_mul_i32 s0, s10, s2
	s_lshl_b64 s[0:1], s[0:1], 2
	s_add_u32 s17, s28, s0
	s_addc_u32 s18, s29, s1
	s_branch .LBB40_18
.LBB40_17:                              ;   in Loop: Header=BB40_18 Depth=1
	s_or_b64 exec, exec, s[2:3]
	s_add_i32 s19, s19, 1
	s_cmp_lg_u32 s19, s30
	s_cbranch_scc0 .LBB40_21
.LBB40_18:                              ; =>This Loop Header: Depth=1
                                        ;     Child Loop BB40_20 Depth 2
	s_and_saveexec_b64 s[2:3], vcc
	s_cbranch_execz .LBB40_17
; %bb.19:                               ;   in Loop: Header=BB40_18 Depth=1
	s_mul_i32 s0, s9, s19
	s_mul_hi_u32 s1, s8, s19
	s_add_i32 s1, s1, s0
	s_mul_i32 s0, s8, s19
	s_lshl_b64 s[0:1], s[0:1], 2
	s_add_u32 s4, s14, s0
	s_load_dword s12, s[20:21], 0xc
	s_addc_u32 s5, s16, s1
	s_mul_i32 s0, s11, s19
	s_mul_hi_u32 s1, s10, s19
	s_add_i32 s1, s1, s0
	s_mul_i32 s0, s10, s19
	s_lshl_b64 s[0:1], s[0:1], 2
	s_add_u32 s6, s17, s0
	s_addc_u32 s7, s18, s1
	s_waitcnt lgkmcnt(0)
	s_and_b32 s22, s12, 0xffff
	s_mov_b64 s[12:13], 0
	v_mov_b32_e32 v2, v0
.LBB40_20:                              ;   Parent Loop BB40_18 Depth=1
                                        ; =>  This Inner Loop Header: Depth=2
	v_ashrrev_i32_e32 v3, 31, v2
	v_lshlrev_b64 v[4:5], 2, v[2:3]
	v_lshl_add_u64 v[6:7], s[4:5], 0, v[4:5]
	global_load_dword v1, v[6:7], off
	v_add_u32_e32 v2, s22, v2
	v_cmp_le_i32_e64 s[0:1], s15, v2
	v_lshl_add_u64 v[4:5], s[6:7], 0, v[4:5]
	s_or_b64 s[12:13], s[0:1], s[12:13]
	s_waitcnt vmcnt(0)
	global_store_dword v[4:5], v1, off
	s_andn2_b64 exec, exec, s[12:13]
	s_cbranch_execnz .LBB40_20
	s_branch .LBB40_17
.LBB40_21:
	s_endpgm
	.section	.rodata,"a",@progbits
	.p2align	6, 0x0
	.amdhsa_kernel _ZN4vllm30gather_and_maybe_dequant_cacheIffLNS_18Fp8KVCacheDataTypeE0EEEvPKT0_PT_PKiS8_iillllPKfS8_
		.amdhsa_group_segment_fixed_size 0
		.amdhsa_private_segment_fixed_size 0
		.amdhsa_kernarg_size 344
		.amdhsa_user_sgpr_count 2
		.amdhsa_user_sgpr_dispatch_ptr 0
		.amdhsa_user_sgpr_queue_ptr 0
		.amdhsa_user_sgpr_kernarg_segment_ptr 1
		.amdhsa_user_sgpr_dispatch_id 0
		.amdhsa_user_sgpr_kernarg_preload_length 0
		.amdhsa_user_sgpr_kernarg_preload_offset 0
		.amdhsa_user_sgpr_private_segment_size 0
		.amdhsa_uses_dynamic_stack 0
		.amdhsa_enable_private_segment 0
		.amdhsa_system_sgpr_workgroup_id_x 1
		.amdhsa_system_sgpr_workgroup_id_y 1
		.amdhsa_system_sgpr_workgroup_id_z 0
		.amdhsa_system_sgpr_workgroup_info 0
		.amdhsa_system_vgpr_workitem_id 0
		.amdhsa_next_free_vgpr 8
		.amdhsa_next_free_sgpr 38
		.amdhsa_accum_offset 8
		.amdhsa_reserve_vcc 1
		.amdhsa_float_round_mode_32 0
		.amdhsa_float_round_mode_16_64 0
		.amdhsa_float_denorm_mode_32 3
		.amdhsa_float_denorm_mode_16_64 3
		.amdhsa_dx10_clamp 1
		.amdhsa_ieee_mode 1
		.amdhsa_fp16_overflow 0
		.amdhsa_tg_split 0
		.amdhsa_exception_fp_ieee_invalid_op 0
		.amdhsa_exception_fp_denorm_src 0
		.amdhsa_exception_fp_ieee_div_zero 0
		.amdhsa_exception_fp_ieee_overflow 0
		.amdhsa_exception_fp_ieee_underflow 0
		.amdhsa_exception_fp_ieee_inexact 0
		.amdhsa_exception_int_div_zero 0
	.end_amdhsa_kernel
	.section	.text._ZN4vllm30gather_and_maybe_dequant_cacheIffLNS_18Fp8KVCacheDataTypeE0EEEvPKT0_PT_PKiS8_iillllPKfS8_,"axG",@progbits,_ZN4vllm30gather_and_maybe_dequant_cacheIffLNS_18Fp8KVCacheDataTypeE0EEEvPKT0_PT_PKiS8_iillllPKfS8_,comdat
.Lfunc_end40:
	.size	_ZN4vllm30gather_and_maybe_dequant_cacheIffLNS_18Fp8KVCacheDataTypeE0EEEvPKT0_PT_PKiS8_iillllPKfS8_, .Lfunc_end40-_ZN4vllm30gather_and_maybe_dequant_cacheIffLNS_18Fp8KVCacheDataTypeE0EEEvPKT0_PT_PKiS8_iillllPKfS8_
                                        ; -- End function
	.set _ZN4vllm30gather_and_maybe_dequant_cacheIffLNS_18Fp8KVCacheDataTypeE0EEEvPKT0_PT_PKiS8_iillllPKfS8_.num_vgpr, 8
	.set _ZN4vllm30gather_and_maybe_dequant_cacheIffLNS_18Fp8KVCacheDataTypeE0EEEvPKT0_PT_PKiS8_iillllPKfS8_.num_agpr, 0
	.set _ZN4vllm30gather_and_maybe_dequant_cacheIffLNS_18Fp8KVCacheDataTypeE0EEEvPKT0_PT_PKiS8_iillllPKfS8_.numbered_sgpr, 38
	.set _ZN4vllm30gather_and_maybe_dequant_cacheIffLNS_18Fp8KVCacheDataTypeE0EEEvPKT0_PT_PKiS8_iillllPKfS8_.num_named_barrier, 0
	.set _ZN4vllm30gather_and_maybe_dequant_cacheIffLNS_18Fp8KVCacheDataTypeE0EEEvPKT0_PT_PKiS8_iillllPKfS8_.private_seg_size, 0
	.set _ZN4vllm30gather_and_maybe_dequant_cacheIffLNS_18Fp8KVCacheDataTypeE0EEEvPKT0_PT_PKiS8_iillllPKfS8_.uses_vcc, 1
	.set _ZN4vllm30gather_and_maybe_dequant_cacheIffLNS_18Fp8KVCacheDataTypeE0EEEvPKT0_PT_PKiS8_iillllPKfS8_.uses_flat_scratch, 0
	.set _ZN4vllm30gather_and_maybe_dequant_cacheIffLNS_18Fp8KVCacheDataTypeE0EEEvPKT0_PT_PKiS8_iillllPKfS8_.has_dyn_sized_stack, 0
	.set _ZN4vllm30gather_and_maybe_dequant_cacheIffLNS_18Fp8KVCacheDataTypeE0EEEvPKT0_PT_PKiS8_iillllPKfS8_.has_recursion, 0
	.set _ZN4vllm30gather_and_maybe_dequant_cacheIffLNS_18Fp8KVCacheDataTypeE0EEEvPKT0_PT_PKiS8_iillllPKfS8_.has_indirect_call, 0
	.section	.AMDGPU.csdata,"",@progbits
; Kernel info:
; codeLenInByte = 1308
; TotalNumSgprs: 44
; NumVgprs: 8
; NumAgprs: 0
; TotalNumVgprs: 8
; ScratchSize: 0
; MemoryBound: 0
; FloatMode: 240
; IeeeMode: 1
; LDSByteSize: 0 bytes/workgroup (compile time only)
; SGPRBlocks: 5
; VGPRBlocks: 0
; NumSGPRsForWavesPerEU: 44
; NumVGPRsForWavesPerEU: 8
; AccumOffset: 8
; Occupancy: 8
; WaveLimiterHint : 1
; COMPUTE_PGM_RSRC2:SCRATCH_EN: 0
; COMPUTE_PGM_RSRC2:USER_SGPR: 2
; COMPUTE_PGM_RSRC2:TRAP_HANDLER: 0
; COMPUTE_PGM_RSRC2:TGID_X_EN: 1
; COMPUTE_PGM_RSRC2:TGID_Y_EN: 1
; COMPUTE_PGM_RSRC2:TGID_Z_EN: 0
; COMPUTE_PGM_RSRC2:TIDIG_COMP_CNT: 0
; COMPUTE_PGM_RSRC3_GFX90A:ACCUM_OFFSET: 1
; COMPUTE_PGM_RSRC3_GFX90A:TG_SPLIT: 0
	.section	.text._ZN4vllm30gather_and_maybe_dequant_cacheIttLNS_18Fp8KVCacheDataTypeE0EEEvPKT0_PT_PKiS8_iillllPKfS8_,"axG",@progbits,_ZN4vllm30gather_and_maybe_dequant_cacheIttLNS_18Fp8KVCacheDataTypeE0EEEvPKT0_PT_PKiS8_iillllPKfS8_,comdat
	.protected	_ZN4vllm30gather_and_maybe_dequant_cacheIttLNS_18Fp8KVCacheDataTypeE0EEEvPKT0_PT_PKiS8_iillllPKfS8_ ; -- Begin function _ZN4vllm30gather_and_maybe_dequant_cacheIttLNS_18Fp8KVCacheDataTypeE0EEEvPKT0_PT_PKiS8_iillllPKfS8_
	.globl	_ZN4vllm30gather_and_maybe_dequant_cacheIttLNS_18Fp8KVCacheDataTypeE0EEEvPKT0_PT_PKiS8_iillllPKfS8_
	.p2align	8
	.type	_ZN4vllm30gather_and_maybe_dequant_cacheIttLNS_18Fp8KVCacheDataTypeE0EEEvPKT0_PT_PKiS8_iillllPKfS8_,@function
_ZN4vllm30gather_and_maybe_dequant_cacheIttLNS_18Fp8KVCacheDataTypeE0EEEvPKT0_PT_PKiS8_iillllPKfS8_: ; @_ZN4vllm30gather_and_maybe_dequant_cacheIttLNS_18Fp8KVCacheDataTypeE0EEEvPKT0_PT_PKiS8_iillllPKfS8_
; %bb.0:
	s_load_dwordx4 s[12:15], s[0:1], 0x18
	s_load_dword s5, s[0:1], 0x5c
	s_mov_b32 s4, s3
	s_mov_b32 s3, 0
	s_add_u32 s20, s0, 0x58
	s_addc_u32 s21, s1, 0
	s_lshl_b64 s[6:7], s[2:3], 2
	s_waitcnt lgkmcnt(0)
	s_add_u32 s8, s12, s6
	s_addc_u32 s9, s13, s7
	s_abs_i32 s3, s14
	v_cvt_f32_u32_e32 v1, s3
	s_load_dwordx2 s[26:27], s[8:9], 0x0
	s_ashr_i32 s10, s14, 31
	v_rcp_iflag_f32_e32 v1, v1
	s_waitcnt lgkmcnt(0)
	s_sub_i32 s8, s27, s26
	s_add_i32 s9, s14, s8
	v_mul_f32_e32 v1, 0x4f7ffffe, v1
	v_cvt_u32_f32_e32 v1, v1
	s_add_i32 s9, s9, -1
	s_ashr_i32 s11, s9, 31
	s_abs_i32 s12, s9
	s_sub_i32 s9, 0, s3
	v_readfirstlane_b32 s13, v1
	s_mul_i32 s9, s9, s13
	s_mul_hi_u32 s9, s13, s9
	s_add_i32 s9, s13, s9
	s_mul_hi_u32 s13, s12, s9
	s_mul_i32 s16, s13, s3
	s_sub_i32 s12, s12, s16
	s_xor_b32 s11, s11, s10
	s_add_i32 s16, s13, 1
	s_sub_i32 s17, s12, s3
	s_cmp_ge_u32 s12, s3
	s_cselect_b32 s13, s16, s13
	s_cselect_b32 s12, s17, s12
	s_add_i32 s16, s13, 1
	s_cmp_ge_u32 s12, s3
	s_cselect_b32 s12, s16, s13
	s_abs_i32 s13, s5
	v_cvt_f32_u32_e32 v1, s13
	s_xor_b32 s12, s12, s11
	s_sub_i32 s11, s12, s11
	s_sub_i32 s16, 0, s13
	v_rcp_iflag_f32_e32 v1, v1
	s_add_i32 s12, s5, s11
	s_add_i32 s12, s12, -1
	s_xor_b32 s5, s12, s5
	v_mul_f32_e32 v1, 0x4f7ffffe, v1
	v_cvt_u32_f32_e32 v1, v1
	s_abs_i32 s12, s12
	s_ashr_i32 s5, s5, 31
	v_readfirstlane_b32 s17, v1
	s_mul_i32 s16, s16, s17
	s_mul_hi_u32 s16, s17, s16
	s_add_i32 s17, s17, s16
	s_mul_hi_u32 s16, s12, s17
	s_mul_i32 s17, s16, s13
	s_sub_i32 s12, s12, s17
	s_add_i32 s17, s16, 1
	s_sub_i32 s18, s12, s13
	s_cmp_ge_u32 s12, s13
	s_cselect_b32 s16, s17, s16
	s_cselect_b32 s12, s18, s12
	s_add_i32 s17, s16, 1
	s_cmp_ge_u32 s12, s13
	s_cselect_b32 s12, s17, s16
	s_xor_b32 s12, s12, s5
	s_sub_i32 s13, s12, s5
	s_mul_i32 s12, s13, s4
	s_cmp_ge_i32 s12, s11
	s_cbranch_scc1 .LBB41_21
; %bb.1:
	s_load_dwordx2 s[4:5], s[0:1], 0x50
	s_load_dwordx4 s[16:19], s[0:1], 0x8
	s_mov_b64 s[28:29], 0
	s_waitcnt lgkmcnt(0)
	s_cmp_eq_u64 s[4:5], 0
	s_cbranch_scc1 .LBB41_3
; %bb.2:
	s_add_u32 s4, s4, s6
	s_addc_u32 s5, s5, s7
	s_load_dword s4, s[4:5], 0x0
	s_waitcnt lgkmcnt(0)
	s_ashr_i32 s5, s4, 31
	s_abs_i32 s4, s4
	s_mul_hi_u32 s6, s4, s9
	s_mul_i32 s7, s6, s3
	s_sub_i32 s4, s4, s7
	s_xor_b32 s5, s5, s10
	s_add_i32 s10, s6, 1
	s_sub_i32 s7, s4, s3
	s_cmp_ge_u32 s4, s3
	s_cselect_b32 s6, s10, s6
	s_cselect_b32 s4, s7, s4
	s_add_i32 s7, s6, 1
	s_cmp_ge_u32 s4, s3
	s_cselect_b32 s4, s7, s6
	s_xor_b32 s4, s4, s5
	s_sub_i32 s28, s4, s5
	s_ashr_i32 s29, s28, 31
.LBB41_3:
	s_load_dwordx2 s[22:23], s[0:1], 0x0
	s_add_i32 s4, s12, s13
	s_min_i32 s24, s4, s11
	s_cmp_gt_i32 s11, s4
	s_mov_b32 s30, 0
	s_cbranch_scc1 .LBB41_5
; %bb.4:
	s_abs_i32 s5, s8
	s_mul_hi_u32 s6, s5, s9
	s_mul_i32 s6, s6, s3
	s_sub_i32 s5, s5, s6
	s_ashr_i32 s4, s8, 31
	s_sub_i32 s6, s5, s3
	s_cmp_ge_u32 s5, s3
	s_cselect_b32 s5, s6, s5
	s_sub_i32 s6, s5, s3
	s_cmp_ge_u32 s5, s3
	s_cselect_b32 s3, s6, s5
	s_xor_b32 s3, s3, s4
	s_sub_i32 s30, s3, s4
	s_cmp_lg_u32 s30, 0
	s_cselect_b64 s[4:5], -1, 0
	s_cmp_lg_u64 s[4:5], 0
	s_subb_u32 s24, s24, 0
.LBB41_5:
	s_load_dwordx8 s[4:11], s[0:1], 0x28
	s_waitcnt lgkmcnt(0)
	s_mul_i32 s0, s2, s4
	s_ashr_i32 s1, s0, 31
	s_lshl_b64 s[0:1], s[0:1], 2
	s_add_u32 s4, s18, s0
	s_addc_u32 s5, s19, s1
	s_lshl_b64 s[0:1], s[28:29], 2
	s_add_u32 s31, s4, s0
	s_addc_u32 s33, s5, s1
	s_ashr_i32 s0, s26, 31
	s_mul_hi_u32 s2, s10, s26
	s_mul_i32 s0, s10, s0
	s_mul_i32 s3, s11, s26
	s_add_i32 s0, s2, s0
	s_add_i32 s1, s0, s3
	s_mul_i32 s0, s10, s26
	s_lshl_b64 s[0:1], s[0:1], 1
	s_add_u32 s28, s16, s0
	s_addc_u32 s29, s17, s1
	s_cmp_ge_i32 s12, s24
	s_cbranch_scc1 .LBB41_14
; %bb.6:
	s_cmp_gt_i32 s14, 0
	s_cselect_b64 s[2:3], -1, 0
	v_cndmask_b32_e64 v1, 0, 1, s[2:3]
	v_cmp_gt_i32_e64 s[0:1], s15, v0
	v_cmp_ne_u32_e64 s[2:3], 1, v1
	s_branch .LBB41_8
.LBB41_7:                               ;   in Loop: Header=BB41_8 Depth=1
	s_add_i32 s12, s12, 1
	s_cmp_ge_i32 s12, s24
	s_cbranch_scc1 .LBB41_14
.LBB41_8:                               ; =>This Loop Header: Depth=1
                                        ;     Child Loop BB41_11 Depth 2
                                        ;       Child Loop BB41_13 Depth 3
	s_and_b64 vcc, exec, s[2:3]
	s_cbranch_vccnz .LBB41_7
; %bb.9:                                ;   in Loop: Header=BB41_8 Depth=1
	s_ashr_i32 s13, s12, 31
	s_lshl_b64 s[4:5], s[12:13], 2
	s_add_u32 s4, s31, s4
	s_addc_u32 s5, s33, s5
	s_load_dword s4, s[4:5], 0x0
	s_mul_i32 s16, s12, s14
	s_mov_b32 s36, 0
	s_waitcnt lgkmcnt(0)
	s_ashr_i32 s5, s4, 31
	s_mul_hi_u32 s13, s6, s4
	s_mul_i32 s5, s6, s5
	s_mul_i32 s17, s7, s4
	s_add_i32 s5, s13, s5
	s_mul_i32 s4, s6, s4
	s_add_i32 s5, s5, s17
	s_lshl_b64 s[4:5], s[4:5], 1
	s_add_u32 s13, s22, s4
	s_addc_u32 s25, s23, s5
	s_ashr_i32 s4, s16, 31
	s_mul_i32 s4, s10, s4
	s_mul_hi_u32 s5, s10, s16
	s_add_i32 s4, s5, s4
	s_mul_i32 s5, s11, s16
	s_add_i32 s5, s4, s5
	s_mul_i32 s4, s10, s16
	s_lshl_b64 s[4:5], s[4:5], 1
	s_add_u32 s34, s28, s4
	s_addc_u32 s35, s29, s5
	s_branch .LBB41_11
.LBB41_10:                              ;   in Loop: Header=BB41_11 Depth=2
	s_or_b64 exec, exec, s[4:5]
	s_add_i32 s36, s36, 1
	s_cmp_eq_u32 s36, s14
	s_cbranch_scc1 .LBB41_7
.LBB41_11:                              ;   Parent Loop BB41_8 Depth=1
                                        ; =>  This Loop Header: Depth=2
                                        ;       Child Loop BB41_13 Depth 3
	s_and_saveexec_b64 s[4:5], s[0:1]
	s_cbranch_execz .LBB41_10
; %bb.12:                               ;   in Loop: Header=BB41_11 Depth=2
	s_mul_i32 s16, s9, s36
	s_mul_hi_u32 s17, s8, s36
	s_add_i32 s17, s17, s16
	s_mul_i32 s16, s8, s36
	s_lshl_b64 s[16:17], s[16:17], 1
	s_load_dword s26, s[20:21], 0xc
	s_add_u32 s16, s13, s16
	s_mul_i32 s18, s11, s36
	s_mul_hi_u32 s19, s10, s36
	s_addc_u32 s17, s25, s17
	s_add_i32 s19, s19, s18
	s_mul_i32 s18, s10, s36
	s_lshl_b64 s[18:19], s[18:19], 1
	s_add_u32 s18, s34, s18
	s_addc_u32 s19, s35, s19
	s_waitcnt lgkmcnt(0)
	s_and_b32 s37, s26, 0xffff
	s_mov_b64 s[26:27], 0
	v_mov_b32_e32 v2, v0
.LBB41_13:                              ;   Parent Loop BB41_8 Depth=1
                                        ;     Parent Loop BB41_11 Depth=2
                                        ; =>    This Inner Loop Header: Depth=3
	v_ashrrev_i32_e32 v3, 31, v2
	v_lshlrev_b64 v[4:5], 1, v[2:3]
	v_lshl_add_u64 v[6:7], s[16:17], 0, v[4:5]
	global_load_ushort v1, v[6:7], off
	v_add_u32_e32 v2, s37, v2
	v_cmp_le_i32_e32 vcc, s15, v2
	v_lshl_add_u64 v[4:5], s[18:19], 0, v[4:5]
	s_or_b64 s[26:27], vcc, s[26:27]
	s_waitcnt vmcnt(0)
	global_store_short v[4:5], v1, off
	s_andn2_b64 exec, exec, s[26:27]
	s_cbranch_execnz .LBB41_13
	s_branch .LBB41_10
.LBB41_14:
	s_cmp_lg_u32 s30, 0
	s_cbranch_scc0 .LBB41_21
; %bb.15:
	s_cmp_lt_i32 s30, 1
	s_cbranch_scc1 .LBB41_21
; %bb.16:
	s_ashr_i32 s25, s24, 31
	s_lshl_b64 s[0:1], s[24:25], 2
	s_add_u32 s0, s31, s0
	s_addc_u32 s1, s33, s1
	s_load_dword s0, s[0:1], 0x0
	s_mul_i32 s2, s24, s14
	v_cmp_gt_i32_e32 vcc, s15, v0
	s_mov_b32 s19, 0
	s_waitcnt lgkmcnt(0)
	s_ashr_i32 s1, s0, 31
	s_mul_hi_u32 s3, s6, s0
	s_mul_i32 s1, s6, s1
	s_mul_i32 s4, s7, s0
	s_add_i32 s1, s3, s1
	s_mul_i32 s0, s6, s0
	s_add_i32 s1, s1, s4
	s_lshl_b64 s[0:1], s[0:1], 1
	s_add_u32 s14, s22, s0
	s_addc_u32 s16, s23, s1
	s_ashr_i32 s0, s2, 31
	s_mul_i32 s0, s10, s0
	s_mul_hi_u32 s1, s10, s2
	s_add_i32 s0, s1, s0
	s_mul_i32 s1, s11, s2
	s_add_i32 s1, s0, s1
	s_mul_i32 s0, s10, s2
	s_lshl_b64 s[0:1], s[0:1], 1
	s_add_u32 s17, s28, s0
	s_addc_u32 s18, s29, s1
	s_branch .LBB41_18
.LBB41_17:                              ;   in Loop: Header=BB41_18 Depth=1
	s_or_b64 exec, exec, s[2:3]
	s_add_i32 s19, s19, 1
	s_cmp_lg_u32 s19, s30
	s_cbranch_scc0 .LBB41_21
.LBB41_18:                              ; =>This Loop Header: Depth=1
                                        ;     Child Loop BB41_20 Depth 2
	s_and_saveexec_b64 s[2:3], vcc
	s_cbranch_execz .LBB41_17
; %bb.19:                               ;   in Loop: Header=BB41_18 Depth=1
	s_mul_i32 s0, s9, s19
	s_mul_hi_u32 s1, s8, s19
	s_add_i32 s1, s1, s0
	s_mul_i32 s0, s8, s19
	s_lshl_b64 s[0:1], s[0:1], 1
	s_add_u32 s4, s14, s0
	s_load_dword s12, s[20:21], 0xc
	s_addc_u32 s5, s16, s1
	s_mul_i32 s0, s11, s19
	s_mul_hi_u32 s1, s10, s19
	s_add_i32 s1, s1, s0
	s_mul_i32 s0, s10, s19
	s_lshl_b64 s[0:1], s[0:1], 1
	s_add_u32 s6, s17, s0
	s_addc_u32 s7, s18, s1
	s_waitcnt lgkmcnt(0)
	s_and_b32 s22, s12, 0xffff
	s_mov_b64 s[12:13], 0
	v_mov_b32_e32 v2, v0
.LBB41_20:                              ;   Parent Loop BB41_18 Depth=1
                                        ; =>  This Inner Loop Header: Depth=2
	v_ashrrev_i32_e32 v3, 31, v2
	v_lshlrev_b64 v[4:5], 1, v[2:3]
	v_lshl_add_u64 v[6:7], s[4:5], 0, v[4:5]
	global_load_ushort v1, v[6:7], off
	v_add_u32_e32 v2, s22, v2
	v_cmp_le_i32_e64 s[0:1], s15, v2
	v_lshl_add_u64 v[4:5], s[6:7], 0, v[4:5]
	s_or_b64 s[12:13], s[0:1], s[12:13]
	s_waitcnt vmcnt(0)
	global_store_short v[4:5], v1, off
	s_andn2_b64 exec, exec, s[12:13]
	s_cbranch_execnz .LBB41_20
	s_branch .LBB41_17
.LBB41_21:
	s_endpgm
	.section	.rodata,"a",@progbits
	.p2align	6, 0x0
	.amdhsa_kernel _ZN4vllm30gather_and_maybe_dequant_cacheIttLNS_18Fp8KVCacheDataTypeE0EEEvPKT0_PT_PKiS8_iillllPKfS8_
		.amdhsa_group_segment_fixed_size 0
		.amdhsa_private_segment_fixed_size 0
		.amdhsa_kernarg_size 344
		.amdhsa_user_sgpr_count 2
		.amdhsa_user_sgpr_dispatch_ptr 0
		.amdhsa_user_sgpr_queue_ptr 0
		.amdhsa_user_sgpr_kernarg_segment_ptr 1
		.amdhsa_user_sgpr_dispatch_id 0
		.amdhsa_user_sgpr_kernarg_preload_length 0
		.amdhsa_user_sgpr_kernarg_preload_offset 0
		.amdhsa_user_sgpr_private_segment_size 0
		.amdhsa_uses_dynamic_stack 0
		.amdhsa_enable_private_segment 0
		.amdhsa_system_sgpr_workgroup_id_x 1
		.amdhsa_system_sgpr_workgroup_id_y 1
		.amdhsa_system_sgpr_workgroup_id_z 0
		.amdhsa_system_sgpr_workgroup_info 0
		.amdhsa_system_vgpr_workitem_id 0
		.amdhsa_next_free_vgpr 8
		.amdhsa_next_free_sgpr 38
		.amdhsa_accum_offset 8
		.amdhsa_reserve_vcc 1
		.amdhsa_float_round_mode_32 0
		.amdhsa_float_round_mode_16_64 0
		.amdhsa_float_denorm_mode_32 3
		.amdhsa_float_denorm_mode_16_64 3
		.amdhsa_dx10_clamp 1
		.amdhsa_ieee_mode 1
		.amdhsa_fp16_overflow 0
		.amdhsa_tg_split 0
		.amdhsa_exception_fp_ieee_invalid_op 0
		.amdhsa_exception_fp_denorm_src 0
		.amdhsa_exception_fp_ieee_div_zero 0
		.amdhsa_exception_fp_ieee_overflow 0
		.amdhsa_exception_fp_ieee_underflow 0
		.amdhsa_exception_fp_ieee_inexact 0
		.amdhsa_exception_int_div_zero 0
	.end_amdhsa_kernel
	.section	.text._ZN4vllm30gather_and_maybe_dequant_cacheIttLNS_18Fp8KVCacheDataTypeE0EEEvPKT0_PT_PKiS8_iillllPKfS8_,"axG",@progbits,_ZN4vllm30gather_and_maybe_dequant_cacheIttLNS_18Fp8KVCacheDataTypeE0EEEvPKT0_PT_PKiS8_iillllPKfS8_,comdat
.Lfunc_end41:
	.size	_ZN4vllm30gather_and_maybe_dequant_cacheIttLNS_18Fp8KVCacheDataTypeE0EEEvPKT0_PT_PKiS8_iillllPKfS8_, .Lfunc_end41-_ZN4vllm30gather_and_maybe_dequant_cacheIttLNS_18Fp8KVCacheDataTypeE0EEEvPKT0_PT_PKiS8_iillllPKfS8_
                                        ; -- End function
	.set _ZN4vllm30gather_and_maybe_dequant_cacheIttLNS_18Fp8KVCacheDataTypeE0EEEvPKT0_PT_PKiS8_iillllPKfS8_.num_vgpr, 8
	.set _ZN4vllm30gather_and_maybe_dequant_cacheIttLNS_18Fp8KVCacheDataTypeE0EEEvPKT0_PT_PKiS8_iillllPKfS8_.num_agpr, 0
	.set _ZN4vllm30gather_and_maybe_dequant_cacheIttLNS_18Fp8KVCacheDataTypeE0EEEvPKT0_PT_PKiS8_iillllPKfS8_.numbered_sgpr, 38
	.set _ZN4vllm30gather_and_maybe_dequant_cacheIttLNS_18Fp8KVCacheDataTypeE0EEEvPKT0_PT_PKiS8_iillllPKfS8_.num_named_barrier, 0
	.set _ZN4vllm30gather_and_maybe_dequant_cacheIttLNS_18Fp8KVCacheDataTypeE0EEEvPKT0_PT_PKiS8_iillllPKfS8_.private_seg_size, 0
	.set _ZN4vllm30gather_and_maybe_dequant_cacheIttLNS_18Fp8KVCacheDataTypeE0EEEvPKT0_PT_PKiS8_iillllPKfS8_.uses_vcc, 1
	.set _ZN4vllm30gather_and_maybe_dequant_cacheIttLNS_18Fp8KVCacheDataTypeE0EEEvPKT0_PT_PKiS8_iillllPKfS8_.uses_flat_scratch, 0
	.set _ZN4vllm30gather_and_maybe_dequant_cacheIttLNS_18Fp8KVCacheDataTypeE0EEEvPKT0_PT_PKiS8_iillllPKfS8_.has_dyn_sized_stack, 0
	.set _ZN4vllm30gather_and_maybe_dequant_cacheIttLNS_18Fp8KVCacheDataTypeE0EEEvPKT0_PT_PKiS8_iillllPKfS8_.has_recursion, 0
	.set _ZN4vllm30gather_and_maybe_dequant_cacheIttLNS_18Fp8KVCacheDataTypeE0EEEvPKT0_PT_PKiS8_iillllPKfS8_.has_indirect_call, 0
	.section	.AMDGPU.csdata,"",@progbits
; Kernel info:
; codeLenInByte = 1308
; TotalNumSgprs: 44
; NumVgprs: 8
; NumAgprs: 0
; TotalNumVgprs: 8
; ScratchSize: 0
; MemoryBound: 0
; FloatMode: 240
; IeeeMode: 1
; LDSByteSize: 0 bytes/workgroup (compile time only)
; SGPRBlocks: 5
; VGPRBlocks: 0
; NumSGPRsForWavesPerEU: 44
; NumVGPRsForWavesPerEU: 8
; AccumOffset: 8
; Occupancy: 8
; WaveLimiterHint : 1
; COMPUTE_PGM_RSRC2:SCRATCH_EN: 0
; COMPUTE_PGM_RSRC2:USER_SGPR: 2
; COMPUTE_PGM_RSRC2:TRAP_HANDLER: 0
; COMPUTE_PGM_RSRC2:TGID_X_EN: 1
; COMPUTE_PGM_RSRC2:TGID_Y_EN: 1
; COMPUTE_PGM_RSRC2:TGID_Z_EN: 0
; COMPUTE_PGM_RSRC2:TIDIG_COMP_CNT: 0
; COMPUTE_PGM_RSRC3_GFX90A:ACCUM_OFFSET: 1
; COMPUTE_PGM_RSRC3_GFX90A:TG_SPLIT: 0
	.section	.text._ZN4vllm30gather_and_maybe_dequant_cacheI14__hip_bfloat16S1_LNS_18Fp8KVCacheDataTypeE0EEEvPKT0_PT_PKiS9_iillllPKfS9_,"axG",@progbits,_ZN4vllm30gather_and_maybe_dequant_cacheI14__hip_bfloat16S1_LNS_18Fp8KVCacheDataTypeE0EEEvPKT0_PT_PKiS9_iillllPKfS9_,comdat
	.protected	_ZN4vllm30gather_and_maybe_dequant_cacheI14__hip_bfloat16S1_LNS_18Fp8KVCacheDataTypeE0EEEvPKT0_PT_PKiS9_iillllPKfS9_ ; -- Begin function _ZN4vllm30gather_and_maybe_dequant_cacheI14__hip_bfloat16S1_LNS_18Fp8KVCacheDataTypeE0EEEvPKT0_PT_PKiS9_iillllPKfS9_
	.globl	_ZN4vllm30gather_and_maybe_dequant_cacheI14__hip_bfloat16S1_LNS_18Fp8KVCacheDataTypeE0EEEvPKT0_PT_PKiS9_iillllPKfS9_
	.p2align	8
	.type	_ZN4vllm30gather_and_maybe_dequant_cacheI14__hip_bfloat16S1_LNS_18Fp8KVCacheDataTypeE0EEEvPKT0_PT_PKiS9_iillllPKfS9_,@function
_ZN4vllm30gather_and_maybe_dequant_cacheI14__hip_bfloat16S1_LNS_18Fp8KVCacheDataTypeE0EEEvPKT0_PT_PKiS9_iillllPKfS9_: ; @_ZN4vllm30gather_and_maybe_dequant_cacheI14__hip_bfloat16S1_LNS_18Fp8KVCacheDataTypeE0EEEvPKT0_PT_PKiS9_iillllPKfS9_
; %bb.0:
	s_load_dwordx4 s[12:15], s[0:1], 0x18
	s_load_dword s5, s[0:1], 0x5c
	s_mov_b32 s4, s3
	s_mov_b32 s3, 0
	s_add_u32 s20, s0, 0x58
	s_addc_u32 s21, s1, 0
	s_lshl_b64 s[6:7], s[2:3], 2
	s_waitcnt lgkmcnt(0)
	s_add_u32 s8, s12, s6
	s_addc_u32 s9, s13, s7
	s_abs_i32 s3, s14
	v_cvt_f32_u32_e32 v1, s3
	s_load_dwordx2 s[26:27], s[8:9], 0x0
	s_ashr_i32 s10, s14, 31
	v_rcp_iflag_f32_e32 v1, v1
	s_waitcnt lgkmcnt(0)
	s_sub_i32 s8, s27, s26
	s_add_i32 s9, s14, s8
	v_mul_f32_e32 v1, 0x4f7ffffe, v1
	v_cvt_u32_f32_e32 v1, v1
	s_add_i32 s9, s9, -1
	s_ashr_i32 s11, s9, 31
	s_abs_i32 s12, s9
	s_sub_i32 s9, 0, s3
	v_readfirstlane_b32 s13, v1
	s_mul_i32 s9, s9, s13
	s_mul_hi_u32 s9, s13, s9
	s_add_i32 s9, s13, s9
	s_mul_hi_u32 s13, s12, s9
	s_mul_i32 s16, s13, s3
	s_sub_i32 s12, s12, s16
	s_xor_b32 s11, s11, s10
	s_add_i32 s16, s13, 1
	s_sub_i32 s17, s12, s3
	s_cmp_ge_u32 s12, s3
	s_cselect_b32 s13, s16, s13
	s_cselect_b32 s12, s17, s12
	s_add_i32 s16, s13, 1
	s_cmp_ge_u32 s12, s3
	s_cselect_b32 s12, s16, s13
	s_abs_i32 s13, s5
	v_cvt_f32_u32_e32 v1, s13
	s_xor_b32 s12, s12, s11
	s_sub_i32 s11, s12, s11
	s_sub_i32 s16, 0, s13
	v_rcp_iflag_f32_e32 v1, v1
	s_add_i32 s12, s5, s11
	s_add_i32 s12, s12, -1
	s_xor_b32 s5, s12, s5
	v_mul_f32_e32 v1, 0x4f7ffffe, v1
	v_cvt_u32_f32_e32 v1, v1
	s_abs_i32 s12, s12
	s_ashr_i32 s5, s5, 31
	v_readfirstlane_b32 s17, v1
	s_mul_i32 s16, s16, s17
	s_mul_hi_u32 s16, s17, s16
	s_add_i32 s17, s17, s16
	s_mul_hi_u32 s16, s12, s17
	s_mul_i32 s17, s16, s13
	s_sub_i32 s12, s12, s17
	s_add_i32 s17, s16, 1
	s_sub_i32 s18, s12, s13
	s_cmp_ge_u32 s12, s13
	s_cselect_b32 s16, s17, s16
	s_cselect_b32 s12, s18, s12
	s_add_i32 s17, s16, 1
	s_cmp_ge_u32 s12, s13
	s_cselect_b32 s12, s17, s16
	s_xor_b32 s12, s12, s5
	s_sub_i32 s13, s12, s5
	s_mul_i32 s12, s13, s4
	s_cmp_ge_i32 s12, s11
	s_cbranch_scc1 .LBB42_21
; %bb.1:
	s_load_dwordx2 s[4:5], s[0:1], 0x50
	s_load_dwordx4 s[16:19], s[0:1], 0x8
	s_mov_b64 s[28:29], 0
	s_waitcnt lgkmcnt(0)
	s_cmp_eq_u64 s[4:5], 0
	s_cbranch_scc1 .LBB42_3
; %bb.2:
	s_add_u32 s4, s4, s6
	s_addc_u32 s5, s5, s7
	s_load_dword s4, s[4:5], 0x0
	s_waitcnt lgkmcnt(0)
	s_ashr_i32 s5, s4, 31
	s_abs_i32 s4, s4
	s_mul_hi_u32 s6, s4, s9
	s_mul_i32 s7, s6, s3
	s_sub_i32 s4, s4, s7
	s_xor_b32 s5, s5, s10
	s_add_i32 s10, s6, 1
	s_sub_i32 s7, s4, s3
	s_cmp_ge_u32 s4, s3
	s_cselect_b32 s6, s10, s6
	s_cselect_b32 s4, s7, s4
	s_add_i32 s7, s6, 1
	s_cmp_ge_u32 s4, s3
	s_cselect_b32 s4, s7, s6
	s_xor_b32 s4, s4, s5
	s_sub_i32 s28, s4, s5
	s_ashr_i32 s29, s28, 31
.LBB42_3:
	s_load_dwordx2 s[22:23], s[0:1], 0x0
	s_add_i32 s4, s12, s13
	s_min_i32 s24, s4, s11
	s_cmp_gt_i32 s11, s4
	s_mov_b32 s30, 0
	s_cbranch_scc1 .LBB42_5
; %bb.4:
	s_abs_i32 s5, s8
	s_mul_hi_u32 s6, s5, s9
	s_mul_i32 s6, s6, s3
	s_sub_i32 s5, s5, s6
	s_ashr_i32 s4, s8, 31
	s_sub_i32 s6, s5, s3
	s_cmp_ge_u32 s5, s3
	s_cselect_b32 s5, s6, s5
	s_sub_i32 s6, s5, s3
	s_cmp_ge_u32 s5, s3
	s_cselect_b32 s3, s6, s5
	s_xor_b32 s3, s3, s4
	s_sub_i32 s30, s3, s4
	s_cmp_lg_u32 s30, 0
	s_cselect_b64 s[4:5], -1, 0
	s_cmp_lg_u64 s[4:5], 0
	s_subb_u32 s24, s24, 0
.LBB42_5:
	s_load_dwordx8 s[4:11], s[0:1], 0x28
	s_waitcnt lgkmcnt(0)
	s_mul_i32 s0, s2, s4
	s_ashr_i32 s1, s0, 31
	s_lshl_b64 s[0:1], s[0:1], 2
	s_add_u32 s4, s18, s0
	s_addc_u32 s5, s19, s1
	s_lshl_b64 s[0:1], s[28:29], 2
	s_add_u32 s31, s4, s0
	s_addc_u32 s33, s5, s1
	s_ashr_i32 s0, s26, 31
	s_mul_hi_u32 s2, s10, s26
	s_mul_i32 s0, s10, s0
	s_mul_i32 s3, s11, s26
	s_add_i32 s0, s2, s0
	s_add_i32 s1, s0, s3
	s_mul_i32 s0, s10, s26
	s_lshl_b64 s[0:1], s[0:1], 1
	s_add_u32 s28, s16, s0
	s_addc_u32 s29, s17, s1
	s_cmp_ge_i32 s12, s24
	s_cbranch_scc1 .LBB42_14
; %bb.6:
	s_cmp_gt_i32 s14, 0
	s_cselect_b64 s[2:3], -1, 0
	v_cndmask_b32_e64 v1, 0, 1, s[2:3]
	v_cmp_gt_i32_e64 s[0:1], s15, v0
	v_cmp_ne_u32_e64 s[2:3], 1, v1
	s_branch .LBB42_8
.LBB42_7:                               ;   in Loop: Header=BB42_8 Depth=1
	s_add_i32 s12, s12, 1
	s_cmp_ge_i32 s12, s24
	s_cbranch_scc1 .LBB42_14
.LBB42_8:                               ; =>This Loop Header: Depth=1
                                        ;     Child Loop BB42_11 Depth 2
                                        ;       Child Loop BB42_13 Depth 3
	s_and_b64 vcc, exec, s[2:3]
	s_cbranch_vccnz .LBB42_7
; %bb.9:                                ;   in Loop: Header=BB42_8 Depth=1
	s_ashr_i32 s13, s12, 31
	s_lshl_b64 s[4:5], s[12:13], 2
	s_add_u32 s4, s31, s4
	s_addc_u32 s5, s33, s5
	s_load_dword s4, s[4:5], 0x0
	s_mul_i32 s16, s12, s14
	s_mov_b32 s36, 0
	s_waitcnt lgkmcnt(0)
	s_ashr_i32 s5, s4, 31
	s_mul_hi_u32 s13, s6, s4
	s_mul_i32 s5, s6, s5
	s_mul_i32 s17, s7, s4
	s_add_i32 s5, s13, s5
	s_mul_i32 s4, s6, s4
	s_add_i32 s5, s5, s17
	s_lshl_b64 s[4:5], s[4:5], 1
	s_add_u32 s13, s22, s4
	s_addc_u32 s25, s23, s5
	s_ashr_i32 s4, s16, 31
	s_mul_i32 s4, s10, s4
	s_mul_hi_u32 s5, s10, s16
	s_add_i32 s4, s5, s4
	s_mul_i32 s5, s11, s16
	s_add_i32 s5, s4, s5
	s_mul_i32 s4, s10, s16
	s_lshl_b64 s[4:5], s[4:5], 1
	s_add_u32 s34, s28, s4
	s_addc_u32 s35, s29, s5
	s_branch .LBB42_11
.LBB42_10:                              ;   in Loop: Header=BB42_11 Depth=2
	s_or_b64 exec, exec, s[4:5]
	s_add_i32 s36, s36, 1
	s_cmp_eq_u32 s36, s14
	s_cbranch_scc1 .LBB42_7
.LBB42_11:                              ;   Parent Loop BB42_8 Depth=1
                                        ; =>  This Loop Header: Depth=2
                                        ;       Child Loop BB42_13 Depth 3
	s_and_saveexec_b64 s[4:5], s[0:1]
	s_cbranch_execz .LBB42_10
; %bb.12:                               ;   in Loop: Header=BB42_11 Depth=2
	s_mul_i32 s16, s9, s36
	s_mul_hi_u32 s17, s8, s36
	s_add_i32 s17, s17, s16
	s_mul_i32 s16, s8, s36
	s_lshl_b64 s[16:17], s[16:17], 1
	s_load_dword s26, s[20:21], 0xc
	s_add_u32 s16, s13, s16
	s_mul_i32 s18, s11, s36
	s_mul_hi_u32 s19, s10, s36
	s_addc_u32 s17, s25, s17
	s_add_i32 s19, s19, s18
	s_mul_i32 s18, s10, s36
	s_lshl_b64 s[18:19], s[18:19], 1
	s_add_u32 s18, s34, s18
	s_addc_u32 s19, s35, s19
	s_waitcnt lgkmcnt(0)
	s_and_b32 s37, s26, 0xffff
	s_mov_b64 s[26:27], 0
	v_mov_b32_e32 v2, v0
.LBB42_13:                              ;   Parent Loop BB42_8 Depth=1
                                        ;     Parent Loop BB42_11 Depth=2
                                        ; =>    This Inner Loop Header: Depth=3
	v_ashrrev_i32_e32 v3, 31, v2
	v_lshlrev_b64 v[4:5], 1, v[2:3]
	v_lshl_add_u64 v[6:7], s[16:17], 0, v[4:5]
	global_load_ushort v1, v[6:7], off
	v_add_u32_e32 v2, s37, v2
	v_cmp_le_i32_e32 vcc, s15, v2
	v_lshl_add_u64 v[4:5], s[18:19], 0, v[4:5]
	s_or_b64 s[26:27], vcc, s[26:27]
	s_waitcnt vmcnt(0)
	global_store_short v[4:5], v1, off
	s_andn2_b64 exec, exec, s[26:27]
	s_cbranch_execnz .LBB42_13
	s_branch .LBB42_10
.LBB42_14:
	s_cmp_lg_u32 s30, 0
	s_cbranch_scc0 .LBB42_21
; %bb.15:
	s_cmp_lt_i32 s30, 1
	s_cbranch_scc1 .LBB42_21
; %bb.16:
	s_ashr_i32 s25, s24, 31
	s_lshl_b64 s[0:1], s[24:25], 2
	s_add_u32 s0, s31, s0
	s_addc_u32 s1, s33, s1
	s_load_dword s0, s[0:1], 0x0
	s_mul_i32 s2, s24, s14
	v_cmp_gt_i32_e32 vcc, s15, v0
	s_mov_b32 s19, 0
	s_waitcnt lgkmcnt(0)
	s_ashr_i32 s1, s0, 31
	s_mul_hi_u32 s3, s6, s0
	s_mul_i32 s1, s6, s1
	s_mul_i32 s4, s7, s0
	s_add_i32 s1, s3, s1
	s_mul_i32 s0, s6, s0
	s_add_i32 s1, s1, s4
	s_lshl_b64 s[0:1], s[0:1], 1
	s_add_u32 s14, s22, s0
	s_addc_u32 s16, s23, s1
	s_ashr_i32 s0, s2, 31
	s_mul_i32 s0, s10, s0
	s_mul_hi_u32 s1, s10, s2
	s_add_i32 s0, s1, s0
	s_mul_i32 s1, s11, s2
	s_add_i32 s1, s0, s1
	s_mul_i32 s0, s10, s2
	s_lshl_b64 s[0:1], s[0:1], 1
	s_add_u32 s17, s28, s0
	s_addc_u32 s18, s29, s1
	s_branch .LBB42_18
.LBB42_17:                              ;   in Loop: Header=BB42_18 Depth=1
	s_or_b64 exec, exec, s[2:3]
	s_add_i32 s19, s19, 1
	s_cmp_lg_u32 s19, s30
	s_cbranch_scc0 .LBB42_21
.LBB42_18:                              ; =>This Loop Header: Depth=1
                                        ;     Child Loop BB42_20 Depth 2
	s_and_saveexec_b64 s[2:3], vcc
	s_cbranch_execz .LBB42_17
; %bb.19:                               ;   in Loop: Header=BB42_18 Depth=1
	s_mul_i32 s0, s9, s19
	s_mul_hi_u32 s1, s8, s19
	s_add_i32 s1, s1, s0
	s_mul_i32 s0, s8, s19
	s_lshl_b64 s[0:1], s[0:1], 1
	s_add_u32 s4, s14, s0
	s_load_dword s12, s[20:21], 0xc
	s_addc_u32 s5, s16, s1
	s_mul_i32 s0, s11, s19
	s_mul_hi_u32 s1, s10, s19
	s_add_i32 s1, s1, s0
	s_mul_i32 s0, s10, s19
	s_lshl_b64 s[0:1], s[0:1], 1
	s_add_u32 s6, s17, s0
	s_addc_u32 s7, s18, s1
	s_waitcnt lgkmcnt(0)
	s_and_b32 s22, s12, 0xffff
	s_mov_b64 s[12:13], 0
	v_mov_b32_e32 v2, v0
.LBB42_20:                              ;   Parent Loop BB42_18 Depth=1
                                        ; =>  This Inner Loop Header: Depth=2
	v_ashrrev_i32_e32 v3, 31, v2
	v_lshlrev_b64 v[4:5], 1, v[2:3]
	v_lshl_add_u64 v[6:7], s[4:5], 0, v[4:5]
	global_load_ushort v1, v[6:7], off
	v_add_u32_e32 v2, s22, v2
	v_cmp_le_i32_e64 s[0:1], s15, v2
	v_lshl_add_u64 v[4:5], s[6:7], 0, v[4:5]
	s_or_b64 s[12:13], s[0:1], s[12:13]
	s_waitcnt vmcnt(0)
	global_store_short v[4:5], v1, off
	s_andn2_b64 exec, exec, s[12:13]
	s_cbranch_execnz .LBB42_20
	s_branch .LBB42_17
.LBB42_21:
	s_endpgm
	.section	.rodata,"a",@progbits
	.p2align	6, 0x0
	.amdhsa_kernel _ZN4vllm30gather_and_maybe_dequant_cacheI14__hip_bfloat16S1_LNS_18Fp8KVCacheDataTypeE0EEEvPKT0_PT_PKiS9_iillllPKfS9_
		.amdhsa_group_segment_fixed_size 0
		.amdhsa_private_segment_fixed_size 0
		.amdhsa_kernarg_size 344
		.amdhsa_user_sgpr_count 2
		.amdhsa_user_sgpr_dispatch_ptr 0
		.amdhsa_user_sgpr_queue_ptr 0
		.amdhsa_user_sgpr_kernarg_segment_ptr 1
		.amdhsa_user_sgpr_dispatch_id 0
		.amdhsa_user_sgpr_kernarg_preload_length 0
		.amdhsa_user_sgpr_kernarg_preload_offset 0
		.amdhsa_user_sgpr_private_segment_size 0
		.amdhsa_uses_dynamic_stack 0
		.amdhsa_enable_private_segment 0
		.amdhsa_system_sgpr_workgroup_id_x 1
		.amdhsa_system_sgpr_workgroup_id_y 1
		.amdhsa_system_sgpr_workgroup_id_z 0
		.amdhsa_system_sgpr_workgroup_info 0
		.amdhsa_system_vgpr_workitem_id 0
		.amdhsa_next_free_vgpr 8
		.amdhsa_next_free_sgpr 38
		.amdhsa_accum_offset 8
		.amdhsa_reserve_vcc 1
		.amdhsa_float_round_mode_32 0
		.amdhsa_float_round_mode_16_64 0
		.amdhsa_float_denorm_mode_32 3
		.amdhsa_float_denorm_mode_16_64 3
		.amdhsa_dx10_clamp 1
		.amdhsa_ieee_mode 1
		.amdhsa_fp16_overflow 0
		.amdhsa_tg_split 0
		.amdhsa_exception_fp_ieee_invalid_op 0
		.amdhsa_exception_fp_denorm_src 0
		.amdhsa_exception_fp_ieee_div_zero 0
		.amdhsa_exception_fp_ieee_overflow 0
		.amdhsa_exception_fp_ieee_underflow 0
		.amdhsa_exception_fp_ieee_inexact 0
		.amdhsa_exception_int_div_zero 0
	.end_amdhsa_kernel
	.section	.text._ZN4vllm30gather_and_maybe_dequant_cacheI14__hip_bfloat16S1_LNS_18Fp8KVCacheDataTypeE0EEEvPKT0_PT_PKiS9_iillllPKfS9_,"axG",@progbits,_ZN4vllm30gather_and_maybe_dequant_cacheI14__hip_bfloat16S1_LNS_18Fp8KVCacheDataTypeE0EEEvPKT0_PT_PKiS9_iillllPKfS9_,comdat
.Lfunc_end42:
	.size	_ZN4vllm30gather_and_maybe_dequant_cacheI14__hip_bfloat16S1_LNS_18Fp8KVCacheDataTypeE0EEEvPKT0_PT_PKiS9_iillllPKfS9_, .Lfunc_end42-_ZN4vllm30gather_and_maybe_dequant_cacheI14__hip_bfloat16S1_LNS_18Fp8KVCacheDataTypeE0EEEvPKT0_PT_PKiS9_iillllPKfS9_
                                        ; -- End function
	.set _ZN4vllm30gather_and_maybe_dequant_cacheI14__hip_bfloat16S1_LNS_18Fp8KVCacheDataTypeE0EEEvPKT0_PT_PKiS9_iillllPKfS9_.num_vgpr, 8
	.set _ZN4vllm30gather_and_maybe_dequant_cacheI14__hip_bfloat16S1_LNS_18Fp8KVCacheDataTypeE0EEEvPKT0_PT_PKiS9_iillllPKfS9_.num_agpr, 0
	.set _ZN4vllm30gather_and_maybe_dequant_cacheI14__hip_bfloat16S1_LNS_18Fp8KVCacheDataTypeE0EEEvPKT0_PT_PKiS9_iillllPKfS9_.numbered_sgpr, 38
	.set _ZN4vllm30gather_and_maybe_dequant_cacheI14__hip_bfloat16S1_LNS_18Fp8KVCacheDataTypeE0EEEvPKT0_PT_PKiS9_iillllPKfS9_.num_named_barrier, 0
	.set _ZN4vllm30gather_and_maybe_dequant_cacheI14__hip_bfloat16S1_LNS_18Fp8KVCacheDataTypeE0EEEvPKT0_PT_PKiS9_iillllPKfS9_.private_seg_size, 0
	.set _ZN4vllm30gather_and_maybe_dequant_cacheI14__hip_bfloat16S1_LNS_18Fp8KVCacheDataTypeE0EEEvPKT0_PT_PKiS9_iillllPKfS9_.uses_vcc, 1
	.set _ZN4vllm30gather_and_maybe_dequant_cacheI14__hip_bfloat16S1_LNS_18Fp8KVCacheDataTypeE0EEEvPKT0_PT_PKiS9_iillllPKfS9_.uses_flat_scratch, 0
	.set _ZN4vllm30gather_and_maybe_dequant_cacheI14__hip_bfloat16S1_LNS_18Fp8KVCacheDataTypeE0EEEvPKT0_PT_PKiS9_iillllPKfS9_.has_dyn_sized_stack, 0
	.set _ZN4vllm30gather_and_maybe_dequant_cacheI14__hip_bfloat16S1_LNS_18Fp8KVCacheDataTypeE0EEEvPKT0_PT_PKiS9_iillllPKfS9_.has_recursion, 0
	.set _ZN4vllm30gather_and_maybe_dequant_cacheI14__hip_bfloat16S1_LNS_18Fp8KVCacheDataTypeE0EEEvPKT0_PT_PKiS9_iillllPKfS9_.has_indirect_call, 0
	.section	.AMDGPU.csdata,"",@progbits
; Kernel info:
; codeLenInByte = 1308
; TotalNumSgprs: 44
; NumVgprs: 8
; NumAgprs: 0
; TotalNumVgprs: 8
; ScratchSize: 0
; MemoryBound: 0
; FloatMode: 240
; IeeeMode: 1
; LDSByteSize: 0 bytes/workgroup (compile time only)
; SGPRBlocks: 5
; VGPRBlocks: 0
; NumSGPRsForWavesPerEU: 44
; NumVGPRsForWavesPerEU: 8
; AccumOffset: 8
; Occupancy: 8
; WaveLimiterHint : 1
; COMPUTE_PGM_RSRC2:SCRATCH_EN: 0
; COMPUTE_PGM_RSRC2:USER_SGPR: 2
; COMPUTE_PGM_RSRC2:TRAP_HANDLER: 0
; COMPUTE_PGM_RSRC2:TGID_X_EN: 1
; COMPUTE_PGM_RSRC2:TGID_Y_EN: 1
; COMPUTE_PGM_RSRC2:TGID_Z_EN: 0
; COMPUTE_PGM_RSRC2:TIDIG_COMP_CNT: 0
; COMPUTE_PGM_RSRC3_GFX90A:ACCUM_OFFSET: 1
; COMPUTE_PGM_RSRC3_GFX90A:TG_SPLIT: 0
	.section	.text._ZN4vllm30gather_and_maybe_dequant_cacheIfhLNS_18Fp8KVCacheDataTypeE1EEEvPKT0_PT_PKiS8_iillllPKfS8_,"axG",@progbits,_ZN4vllm30gather_and_maybe_dequant_cacheIfhLNS_18Fp8KVCacheDataTypeE1EEEvPKT0_PT_PKiS8_iillllPKfS8_,comdat
	.protected	_ZN4vllm30gather_and_maybe_dequant_cacheIfhLNS_18Fp8KVCacheDataTypeE1EEEvPKT0_PT_PKiS8_iillllPKfS8_ ; -- Begin function _ZN4vllm30gather_and_maybe_dequant_cacheIfhLNS_18Fp8KVCacheDataTypeE1EEEvPKT0_PT_PKiS8_iillllPKfS8_
	.globl	_ZN4vllm30gather_and_maybe_dequant_cacheIfhLNS_18Fp8KVCacheDataTypeE1EEEvPKT0_PT_PKiS8_iillllPKfS8_
	.p2align	8
	.type	_ZN4vllm30gather_and_maybe_dequant_cacheIfhLNS_18Fp8KVCacheDataTypeE1EEEvPKT0_PT_PKiS8_iillllPKfS8_,@function
_ZN4vllm30gather_and_maybe_dequant_cacheIfhLNS_18Fp8KVCacheDataTypeE1EEEvPKT0_PT_PKiS8_iillllPKfS8_: ; @_ZN4vllm30gather_and_maybe_dequant_cacheIfhLNS_18Fp8KVCacheDataTypeE1EEEvPKT0_PT_PKiS8_iillllPKfS8_
; %bb.0:
	s_load_dwordx4 s[12:15], s[0:1], 0x18
	s_load_dword s5, s[0:1], 0x5c
	s_mov_b32 s4, s3
	s_mov_b32 s3, 0
	s_add_u32 s20, s0, 0x58
	s_addc_u32 s21, s1, 0
	s_lshl_b64 s[6:7], s[2:3], 2
	s_waitcnt lgkmcnt(0)
	s_add_u32 s8, s12, s6
	s_addc_u32 s9, s13, s7
	s_abs_i32 s3, s14
	v_cvt_f32_u32_e32 v1, s3
	s_load_dwordx2 s[28:29], s[8:9], 0x0
	s_ashr_i32 s10, s14, 31
	v_rcp_iflag_f32_e32 v1, v1
	s_waitcnt lgkmcnt(0)
	s_sub_i32 s8, s29, s28
	s_add_i32 s9, s14, s8
	v_mul_f32_e32 v1, 0x4f7ffffe, v1
	v_cvt_u32_f32_e32 v1, v1
	s_add_i32 s9, s9, -1
	s_ashr_i32 s11, s9, 31
	s_abs_i32 s12, s9
	s_sub_i32 s9, 0, s3
	v_readfirstlane_b32 s13, v1
	s_mul_i32 s9, s9, s13
	s_mul_hi_u32 s9, s13, s9
	s_add_i32 s9, s13, s9
	s_mul_hi_u32 s13, s12, s9
	s_mul_i32 s16, s13, s3
	s_sub_i32 s12, s12, s16
	s_xor_b32 s11, s11, s10
	s_add_i32 s16, s13, 1
	s_sub_i32 s17, s12, s3
	s_cmp_ge_u32 s12, s3
	s_cselect_b32 s13, s16, s13
	s_cselect_b32 s12, s17, s12
	s_add_i32 s16, s13, 1
	s_cmp_ge_u32 s12, s3
	s_cselect_b32 s12, s16, s13
	s_abs_i32 s13, s5
	v_cvt_f32_u32_e32 v1, s13
	s_xor_b32 s12, s12, s11
	s_sub_i32 s11, s12, s11
	s_sub_i32 s16, 0, s13
	v_rcp_iflag_f32_e32 v1, v1
	s_add_i32 s12, s5, s11
	s_add_i32 s12, s12, -1
	s_xor_b32 s5, s12, s5
	v_mul_f32_e32 v1, 0x4f7ffffe, v1
	v_cvt_u32_f32_e32 v1, v1
	s_abs_i32 s12, s12
	s_ashr_i32 s5, s5, 31
	v_readfirstlane_b32 s17, v1
	s_mul_i32 s16, s16, s17
	s_mul_hi_u32 s16, s17, s16
	s_add_i32 s17, s17, s16
	s_mul_hi_u32 s16, s12, s17
	s_mul_i32 s17, s16, s13
	s_sub_i32 s12, s12, s17
	s_add_i32 s17, s16, 1
	s_sub_i32 s18, s12, s13
	s_cmp_ge_u32 s12, s13
	s_cselect_b32 s16, s17, s16
	s_cselect_b32 s12, s18, s12
	s_add_i32 s17, s16, 1
	s_cmp_ge_u32 s12, s13
	s_cselect_b32 s12, s17, s16
	s_xor_b32 s12, s12, s5
	s_sub_i32 s23, s12, s5
	s_mul_i32 s22, s23, s4
	s_cmp_ge_i32 s22, s11
	s_cbranch_scc1 .LBB43_21
; %bb.1:
	s_load_dwordx2 s[4:5], s[0:1], 0x50
	s_load_dwordx4 s[16:19], s[0:1], 0x8
	s_mov_b64 s[30:31], 0
	s_waitcnt lgkmcnt(0)
	s_cmp_eq_u64 s[4:5], 0
	s_cbranch_scc1 .LBB43_3
; %bb.2:
	s_add_u32 s4, s4, s6
	s_addc_u32 s5, s5, s7
	s_load_dword s4, s[4:5], 0x0
	s_waitcnt lgkmcnt(0)
	s_ashr_i32 s5, s4, 31
	s_abs_i32 s4, s4
	s_mul_hi_u32 s6, s4, s9
	s_mul_i32 s7, s6, s3
	s_sub_i32 s4, s4, s7
	s_xor_b32 s5, s5, s10
	s_add_i32 s10, s6, 1
	s_sub_i32 s7, s4, s3
	s_cmp_ge_u32 s4, s3
	s_cselect_b32 s6, s10, s6
	s_cselect_b32 s4, s7, s4
	s_add_i32 s7, s6, 1
	s_cmp_ge_u32 s4, s3
	s_cselect_b32 s4, s7, s6
	s_xor_b32 s4, s4, s5
	s_sub_i32 s30, s4, s5
	s_ashr_i32 s31, s30, 31
.LBB43_3:
	s_load_dwordx2 s[12:13], s[0:1], 0x48
	s_load_dwordx2 s[24:25], s[0:1], 0x0
	s_add_i32 s4, s22, s23
	s_min_i32 s26, s4, s11
	s_cmp_gt_i32 s11, s4
	s_mov_b32 s33, 0
	s_cbranch_scc1 .LBB43_5
; %bb.4:
	s_abs_i32 s5, s8
	s_mul_hi_u32 s6, s5, s9
	s_mul_i32 s6, s6, s3
	s_sub_i32 s5, s5, s6
	s_ashr_i32 s4, s8, 31
	s_sub_i32 s6, s5, s3
	s_cmp_ge_u32 s5, s3
	s_cselect_b32 s5, s6, s5
	s_sub_i32 s6, s5, s3
	s_cmp_ge_u32 s5, s3
	s_cselect_b32 s3, s6, s5
	s_xor_b32 s3, s3, s4
	s_sub_i32 s33, s3, s4
	s_cmp_lg_u32 s33, 0
	s_cselect_b64 s[4:5], -1, 0
	s_cmp_lg_u64 s[4:5], 0
	s_subb_u32 s26, s26, 0
.LBB43_5:
	s_load_dwordx8 s[4:11], s[0:1], 0x28
	s_waitcnt lgkmcnt(0)
	s_mul_i32 s0, s2, s4
	s_ashr_i32 s1, s0, 31
	s_lshl_b64 s[0:1], s[0:1], 2
	s_add_u32 s4, s18, s0
	s_addc_u32 s5, s19, s1
	s_lshl_b64 s[0:1], s[30:31], 2
	s_add_u32 s34, s4, s0
	s_addc_u32 s35, s5, s1
	s_ashr_i32 s0, s28, 31
	s_mul_hi_u32 s2, s10, s28
	s_mul_i32 s0, s10, s0
	s_mul_i32 s3, s11, s28
	s_add_i32 s0, s2, s0
	s_add_i32 s1, s0, s3
	s_mul_i32 s0, s10, s28
	s_lshl_b64 s[0:1], s[0:1], 2
	s_add_u32 s30, s16, s0
	s_addc_u32 s31, s17, s1
	s_cmp_ge_i32 s22, s26
	s_cbranch_scc1 .LBB43_14
; %bb.6:
	s_cmp_gt_i32 s14, 0
	s_cselect_b64 s[2:3], -1, 0
	v_cndmask_b32_e64 v1, 0, 1, s[2:3]
	v_cmp_gt_i32_e64 s[0:1], s15, v0
	v_cmp_ne_u32_e64 s[2:3], 1, v1
	s_branch .LBB43_8
.LBB43_7:                               ;   in Loop: Header=BB43_8 Depth=1
	s_add_i32 s22, s22, 1
	s_cmp_ge_i32 s22, s26
	s_cbranch_scc1 .LBB43_14
.LBB43_8:                               ; =>This Loop Header: Depth=1
                                        ;     Child Loop BB43_11 Depth 2
                                        ;       Child Loop BB43_13 Depth 3
	s_and_b64 vcc, exec, s[2:3]
	s_cbranch_vccnz .LBB43_7
; %bb.9:                                ;   in Loop: Header=BB43_8 Depth=1
	s_ashr_i32 s23, s22, 31
	s_lshl_b64 s[4:5], s[22:23], 2
	s_add_u32 s4, s34, s4
	s_addc_u32 s5, s35, s5
	s_load_dword s4, s[4:5], 0x0
	s_mul_i32 s16, s22, s14
	s_mov_b32 s38, 0
	s_waitcnt lgkmcnt(0)
	s_ashr_i32 s5, s4, 31
	s_mul_hi_u32 s17, s6, s4
	s_mul_i32 s5, s6, s5
	s_mul_i32 s18, s7, s4
	s_add_i32 s5, s17, s5
	s_mul_i32 s4, s6, s4
	s_add_i32 s5, s5, s18
	s_add_u32 s23, s24, s4
	s_addc_u32 s27, s25, s5
	s_ashr_i32 s4, s16, 31
	s_mul_i32 s4, s10, s4
	s_mul_hi_u32 s5, s10, s16
	s_add_i32 s4, s5, s4
	s_mul_i32 s5, s11, s16
	s_add_i32 s5, s4, s5
	s_mul_i32 s4, s10, s16
	s_lshl_b64 s[4:5], s[4:5], 2
	s_add_u32 s36, s30, s4
	s_addc_u32 s37, s31, s5
	s_branch .LBB43_11
.LBB43_10:                              ;   in Loop: Header=BB43_11 Depth=2
	s_or_b64 exec, exec, s[4:5]
	s_add_i32 s38, s38, 1
	s_cmp_eq_u32 s38, s14
	s_cbranch_scc1 .LBB43_7
.LBB43_11:                              ;   Parent Loop BB43_8 Depth=1
                                        ; =>  This Loop Header: Depth=2
                                        ;       Child Loop BB43_13 Depth 3
	s_and_saveexec_b64 s[4:5], s[0:1]
	s_cbranch_execz .LBB43_10
; %bb.12:                               ;   in Loop: Header=BB43_11 Depth=2
	s_mul_i32 s16, s9, s38
	s_mul_hi_u32 s17, s8, s38
	s_add_i32 s17, s17, s16
	s_mul_i32 s16, s8, s38
	s_load_dword s28, s[20:21], 0xc
	s_add_u32 s16, s23, s16
	s_mul_i32 s18, s11, s38
	s_mul_hi_u32 s19, s10, s38
	s_load_dword s39, s[12:13], 0x0
	s_addc_u32 s17, s27, s17
	s_add_i32 s19, s19, s18
	s_mul_i32 s18, s10, s38
	s_lshl_b64 s[18:19], s[18:19], 2
	s_add_u32 s18, s36, s18
	s_addc_u32 s19, s37, s19
	s_waitcnt lgkmcnt(0)
	s_and_b32 s40, s28, 0xffff
	s_mov_b64 s[28:29], 0
	v_mov_b32_e32 v2, v0
.LBB43_13:                              ;   Parent Loop BB43_8 Depth=1
                                        ;     Parent Loop BB43_11 Depth=2
                                        ; =>    This Inner Loop Header: Depth=3
	v_ashrrev_i32_e32 v3, 31, v2
	v_lshl_add_u64 v[4:5], s[16:17], 0, v[2:3]
	global_load_ubyte v1, v[4:5], off
	v_lshl_add_u64 v[4:5], v[2:3], 2, s[18:19]
	v_add_u32_e32 v2, s40, v2
	v_cmp_le_i32_e32 vcc, s15, v2
	s_or_b64 s[28:29], vcc, s[28:29]
	s_waitcnt vmcnt(0)
	v_cvt_f32_fp8_e32 v1, v1
	v_mul_f32_e32 v1, s39, v1
	global_store_dword v[4:5], v1, off
	s_andn2_b64 exec, exec, s[28:29]
	s_cbranch_execnz .LBB43_13
	s_branch .LBB43_10
.LBB43_14:
	s_cmp_lg_u32 s33, 0
	s_cbranch_scc0 .LBB43_21
; %bb.15:
	s_cmp_lt_i32 s33, 1
	s_cbranch_scc1 .LBB43_21
; %bb.16:
	s_ashr_i32 s27, s26, 31
	s_lshl_b64 s[0:1], s[26:27], 2
	s_add_u32 s0, s34, s0
	s_addc_u32 s1, s35, s1
	s_load_dword s0, s[0:1], 0x0
	s_mul_i32 s2, s26, s14
	v_cmp_gt_i32_e32 vcc, s15, v0
	s_mov_b32 s23, 0
	s_waitcnt lgkmcnt(0)
	s_ashr_i32 s1, s0, 31
	s_mul_hi_u32 s3, s6, s0
	s_mul_i32 s1, s6, s1
	s_mul_i32 s4, s7, s0
	s_add_i32 s1, s3, s1
	s_mul_i32 s0, s6, s0
	s_add_i32 s1, s1, s4
	s_add_u32 s14, s24, s0
	s_addc_u32 s18, s25, s1
	s_ashr_i32 s0, s2, 31
	s_mul_i32 s0, s10, s0
	s_mul_hi_u32 s1, s10, s2
	s_add_i32 s0, s1, s0
	s_mul_i32 s1, s11, s2
	s_add_i32 s1, s0, s1
	s_mul_i32 s0, s10, s2
	s_lshl_b64 s[0:1], s[0:1], 2
	s_add_u32 s19, s30, s0
	s_addc_u32 s22, s31, s1
	s_branch .LBB43_18
.LBB43_17:                              ;   in Loop: Header=BB43_18 Depth=1
	s_or_b64 exec, exec, s[2:3]
	s_add_i32 s23, s23, 1
	s_cmp_lg_u32 s23, s33
	s_cbranch_scc0 .LBB43_21
.LBB43_18:                              ; =>This Loop Header: Depth=1
                                        ;     Child Loop BB43_20 Depth 2
	s_and_saveexec_b64 s[2:3], vcc
	s_cbranch_execz .LBB43_17
; %bb.19:                               ;   in Loop: Header=BB43_18 Depth=1
	s_mul_i32 s0, s9, s23
	s_mul_hi_u32 s1, s8, s23
	s_add_i32 s1, s1, s0
	s_mul_i32 s0, s8, s23
	s_add_u32 s4, s14, s0
	s_load_dword s16, s[20:21], 0xc
	s_addc_u32 s5, s18, s1
	s_mul_i32 s0, s11, s23
	s_mul_hi_u32 s1, s10, s23
	s_load_dword s24, s[12:13], 0x0
	s_add_i32 s1, s1, s0
	s_mul_i32 s0, s10, s23
	s_lshl_b64 s[0:1], s[0:1], 2
	s_add_u32 s6, s19, s0
	s_addc_u32 s7, s22, s1
	s_waitcnt lgkmcnt(0)
	s_and_b32 s25, s16, 0xffff
	s_mov_b64 s[16:17], 0
	v_mov_b32_e32 v2, v0
.LBB43_20:                              ;   Parent Loop BB43_18 Depth=1
                                        ; =>  This Inner Loop Header: Depth=2
	v_ashrrev_i32_e32 v3, 31, v2
	v_lshl_add_u64 v[4:5], s[4:5], 0, v[2:3]
	global_load_ubyte v1, v[4:5], off
	v_lshl_add_u64 v[4:5], v[2:3], 2, s[6:7]
	v_add_u32_e32 v2, s25, v2
	v_cmp_le_i32_e64 s[0:1], s15, v2
	s_or_b64 s[16:17], s[0:1], s[16:17]
	s_waitcnt vmcnt(0)
	v_cvt_f32_fp8_e32 v1, v1
	v_mul_f32_e32 v1, s24, v1
	global_store_dword v[4:5], v1, off
	s_andn2_b64 exec, exec, s[16:17]
	s_cbranch_execnz .LBB43_20
	s_branch .LBB43_17
.LBB43_21:
	s_endpgm
	.section	.rodata,"a",@progbits
	.p2align	6, 0x0
	.amdhsa_kernel _ZN4vllm30gather_and_maybe_dequant_cacheIfhLNS_18Fp8KVCacheDataTypeE1EEEvPKT0_PT_PKiS8_iillllPKfS8_
		.amdhsa_group_segment_fixed_size 0
		.amdhsa_private_segment_fixed_size 0
		.amdhsa_kernarg_size 344
		.amdhsa_user_sgpr_count 2
		.amdhsa_user_sgpr_dispatch_ptr 0
		.amdhsa_user_sgpr_queue_ptr 0
		.amdhsa_user_sgpr_kernarg_segment_ptr 1
		.amdhsa_user_sgpr_dispatch_id 0
		.amdhsa_user_sgpr_kernarg_preload_length 0
		.amdhsa_user_sgpr_kernarg_preload_offset 0
		.amdhsa_user_sgpr_private_segment_size 0
		.amdhsa_uses_dynamic_stack 0
		.amdhsa_enable_private_segment 0
		.amdhsa_system_sgpr_workgroup_id_x 1
		.amdhsa_system_sgpr_workgroup_id_y 1
		.amdhsa_system_sgpr_workgroup_id_z 0
		.amdhsa_system_sgpr_workgroup_info 0
		.amdhsa_system_vgpr_workitem_id 0
		.amdhsa_next_free_vgpr 6
		.amdhsa_next_free_sgpr 41
		.amdhsa_accum_offset 8
		.amdhsa_reserve_vcc 1
		.amdhsa_float_round_mode_32 0
		.amdhsa_float_round_mode_16_64 0
		.amdhsa_float_denorm_mode_32 3
		.amdhsa_float_denorm_mode_16_64 3
		.amdhsa_dx10_clamp 1
		.amdhsa_ieee_mode 1
		.amdhsa_fp16_overflow 0
		.amdhsa_tg_split 0
		.amdhsa_exception_fp_ieee_invalid_op 0
		.amdhsa_exception_fp_denorm_src 0
		.amdhsa_exception_fp_ieee_div_zero 0
		.amdhsa_exception_fp_ieee_overflow 0
		.amdhsa_exception_fp_ieee_underflow 0
		.amdhsa_exception_fp_ieee_inexact 0
		.amdhsa_exception_int_div_zero 0
	.end_amdhsa_kernel
	.section	.text._ZN4vllm30gather_and_maybe_dequant_cacheIfhLNS_18Fp8KVCacheDataTypeE1EEEvPKT0_PT_PKiS8_iillllPKfS8_,"axG",@progbits,_ZN4vllm30gather_and_maybe_dequant_cacheIfhLNS_18Fp8KVCacheDataTypeE1EEEvPKT0_PT_PKiS8_iillllPKfS8_,comdat
.Lfunc_end43:
	.size	_ZN4vllm30gather_and_maybe_dequant_cacheIfhLNS_18Fp8KVCacheDataTypeE1EEEvPKT0_PT_PKiS8_iillllPKfS8_, .Lfunc_end43-_ZN4vllm30gather_and_maybe_dequant_cacheIfhLNS_18Fp8KVCacheDataTypeE1EEEvPKT0_PT_PKiS8_iillllPKfS8_
                                        ; -- End function
	.set _ZN4vllm30gather_and_maybe_dequant_cacheIfhLNS_18Fp8KVCacheDataTypeE1EEEvPKT0_PT_PKiS8_iillllPKfS8_.num_vgpr, 6
	.set _ZN4vllm30gather_and_maybe_dequant_cacheIfhLNS_18Fp8KVCacheDataTypeE1EEEvPKT0_PT_PKiS8_iillllPKfS8_.num_agpr, 0
	.set _ZN4vllm30gather_and_maybe_dequant_cacheIfhLNS_18Fp8KVCacheDataTypeE1EEEvPKT0_PT_PKiS8_iillllPKfS8_.numbered_sgpr, 41
	.set _ZN4vllm30gather_and_maybe_dequant_cacheIfhLNS_18Fp8KVCacheDataTypeE1EEEvPKT0_PT_PKiS8_iillllPKfS8_.num_named_barrier, 0
	.set _ZN4vllm30gather_and_maybe_dequant_cacheIfhLNS_18Fp8KVCacheDataTypeE1EEEvPKT0_PT_PKiS8_iillllPKfS8_.private_seg_size, 0
	.set _ZN4vllm30gather_and_maybe_dequant_cacheIfhLNS_18Fp8KVCacheDataTypeE1EEEvPKT0_PT_PKiS8_iillllPKfS8_.uses_vcc, 1
	.set _ZN4vllm30gather_and_maybe_dequant_cacheIfhLNS_18Fp8KVCacheDataTypeE1EEEvPKT0_PT_PKiS8_iillllPKfS8_.uses_flat_scratch, 0
	.set _ZN4vllm30gather_and_maybe_dequant_cacheIfhLNS_18Fp8KVCacheDataTypeE1EEEvPKT0_PT_PKiS8_iillllPKfS8_.has_dyn_sized_stack, 0
	.set _ZN4vllm30gather_and_maybe_dequant_cacheIfhLNS_18Fp8KVCacheDataTypeE1EEEvPKT0_PT_PKiS8_iillllPKfS8_.has_recursion, 0
	.set _ZN4vllm30gather_and_maybe_dequant_cacheIfhLNS_18Fp8KVCacheDataTypeE1EEEvPKT0_PT_PKiS8_iillllPKfS8_.has_indirect_call, 0
	.section	.AMDGPU.csdata,"",@progbits
; Kernel info:
; codeLenInByte = 1316
; TotalNumSgprs: 47
; NumVgprs: 6
; NumAgprs: 0
; TotalNumVgprs: 6
; ScratchSize: 0
; MemoryBound: 0
; FloatMode: 240
; IeeeMode: 1
; LDSByteSize: 0 bytes/workgroup (compile time only)
; SGPRBlocks: 5
; VGPRBlocks: 0
; NumSGPRsForWavesPerEU: 47
; NumVGPRsForWavesPerEU: 6
; AccumOffset: 8
; Occupancy: 8
; WaveLimiterHint : 1
; COMPUTE_PGM_RSRC2:SCRATCH_EN: 0
; COMPUTE_PGM_RSRC2:USER_SGPR: 2
; COMPUTE_PGM_RSRC2:TRAP_HANDLER: 0
; COMPUTE_PGM_RSRC2:TGID_X_EN: 1
; COMPUTE_PGM_RSRC2:TGID_Y_EN: 1
; COMPUTE_PGM_RSRC2:TGID_Z_EN: 0
; COMPUTE_PGM_RSRC2:TIDIG_COMP_CNT: 0
; COMPUTE_PGM_RSRC3_GFX90A:ACCUM_OFFSET: 1
; COMPUTE_PGM_RSRC3_GFX90A:TG_SPLIT: 0
	.section	.text._ZN4vllm30gather_and_maybe_dequant_cacheIthLNS_18Fp8KVCacheDataTypeE1EEEvPKT0_PT_PKiS8_iillllPKfS8_,"axG",@progbits,_ZN4vllm30gather_and_maybe_dequant_cacheIthLNS_18Fp8KVCacheDataTypeE1EEEvPKT0_PT_PKiS8_iillllPKfS8_,comdat
	.protected	_ZN4vllm30gather_and_maybe_dequant_cacheIthLNS_18Fp8KVCacheDataTypeE1EEEvPKT0_PT_PKiS8_iillllPKfS8_ ; -- Begin function _ZN4vllm30gather_and_maybe_dequant_cacheIthLNS_18Fp8KVCacheDataTypeE1EEEvPKT0_PT_PKiS8_iillllPKfS8_
	.globl	_ZN4vllm30gather_and_maybe_dequant_cacheIthLNS_18Fp8KVCacheDataTypeE1EEEvPKT0_PT_PKiS8_iillllPKfS8_
	.p2align	8
	.type	_ZN4vllm30gather_and_maybe_dequant_cacheIthLNS_18Fp8KVCacheDataTypeE1EEEvPKT0_PT_PKiS8_iillllPKfS8_,@function
_ZN4vllm30gather_and_maybe_dequant_cacheIthLNS_18Fp8KVCacheDataTypeE1EEEvPKT0_PT_PKiS8_iillllPKfS8_: ; @_ZN4vllm30gather_and_maybe_dequant_cacheIthLNS_18Fp8KVCacheDataTypeE1EEEvPKT0_PT_PKiS8_iillllPKfS8_
; %bb.0:
	s_load_dwordx4 s[12:15], s[0:1], 0x18
	s_load_dword s5, s[0:1], 0x5c
	s_mov_b32 s4, s3
	s_mov_b32 s3, 0
	s_add_u32 s20, s0, 0x58
	s_addc_u32 s21, s1, 0
	s_lshl_b64 s[6:7], s[2:3], 2
	s_waitcnt lgkmcnt(0)
	s_add_u32 s8, s12, s6
	s_addc_u32 s9, s13, s7
	s_abs_i32 s3, s14
	v_cvt_f32_u32_e32 v1, s3
	s_load_dwordx2 s[28:29], s[8:9], 0x0
	s_ashr_i32 s10, s14, 31
	v_rcp_iflag_f32_e32 v1, v1
	s_waitcnt lgkmcnt(0)
	s_sub_i32 s8, s29, s28
	s_add_i32 s9, s14, s8
	v_mul_f32_e32 v1, 0x4f7ffffe, v1
	v_cvt_u32_f32_e32 v1, v1
	s_add_i32 s9, s9, -1
	s_ashr_i32 s11, s9, 31
	s_abs_i32 s12, s9
	s_sub_i32 s9, 0, s3
	v_readfirstlane_b32 s13, v1
	s_mul_i32 s9, s9, s13
	s_mul_hi_u32 s9, s13, s9
	s_add_i32 s9, s13, s9
	s_mul_hi_u32 s13, s12, s9
	s_mul_i32 s16, s13, s3
	s_sub_i32 s12, s12, s16
	s_xor_b32 s11, s11, s10
	s_add_i32 s16, s13, 1
	s_sub_i32 s17, s12, s3
	s_cmp_ge_u32 s12, s3
	s_cselect_b32 s13, s16, s13
	s_cselect_b32 s12, s17, s12
	s_add_i32 s16, s13, 1
	s_cmp_ge_u32 s12, s3
	s_cselect_b32 s12, s16, s13
	s_abs_i32 s13, s5
	v_cvt_f32_u32_e32 v1, s13
	s_xor_b32 s12, s12, s11
	s_sub_i32 s11, s12, s11
	s_sub_i32 s16, 0, s13
	v_rcp_iflag_f32_e32 v1, v1
	s_add_i32 s12, s5, s11
	s_add_i32 s12, s12, -1
	s_xor_b32 s5, s12, s5
	v_mul_f32_e32 v1, 0x4f7ffffe, v1
	v_cvt_u32_f32_e32 v1, v1
	s_abs_i32 s12, s12
	s_ashr_i32 s5, s5, 31
	v_readfirstlane_b32 s17, v1
	s_mul_i32 s16, s16, s17
	s_mul_hi_u32 s16, s17, s16
	s_add_i32 s17, s17, s16
	s_mul_hi_u32 s16, s12, s17
	s_mul_i32 s17, s16, s13
	s_sub_i32 s12, s12, s17
	s_add_i32 s17, s16, 1
	s_sub_i32 s18, s12, s13
	s_cmp_ge_u32 s12, s13
	s_cselect_b32 s16, s17, s16
	s_cselect_b32 s12, s18, s12
	s_add_i32 s17, s16, 1
	s_cmp_ge_u32 s12, s13
	s_cselect_b32 s12, s17, s16
	s_xor_b32 s12, s12, s5
	s_sub_i32 s23, s12, s5
	s_mul_i32 s22, s23, s4
	s_cmp_ge_i32 s22, s11
	s_cbranch_scc1 .LBB44_21
; %bb.1:
	s_load_dwordx2 s[4:5], s[0:1], 0x50
	s_load_dwordx4 s[16:19], s[0:1], 0x8
	s_mov_b64 s[30:31], 0
	s_waitcnt lgkmcnt(0)
	s_cmp_eq_u64 s[4:5], 0
	s_cbranch_scc1 .LBB44_3
; %bb.2:
	s_add_u32 s4, s4, s6
	s_addc_u32 s5, s5, s7
	s_load_dword s4, s[4:5], 0x0
	s_waitcnt lgkmcnt(0)
	s_ashr_i32 s5, s4, 31
	s_abs_i32 s4, s4
	s_mul_hi_u32 s6, s4, s9
	s_mul_i32 s7, s6, s3
	s_sub_i32 s4, s4, s7
	s_xor_b32 s5, s5, s10
	s_add_i32 s10, s6, 1
	s_sub_i32 s7, s4, s3
	s_cmp_ge_u32 s4, s3
	s_cselect_b32 s6, s10, s6
	s_cselect_b32 s4, s7, s4
	s_add_i32 s7, s6, 1
	s_cmp_ge_u32 s4, s3
	s_cselect_b32 s4, s7, s6
	s_xor_b32 s4, s4, s5
	s_sub_i32 s30, s4, s5
	s_ashr_i32 s31, s30, 31
.LBB44_3:
	s_load_dwordx2 s[12:13], s[0:1], 0x48
	s_load_dwordx2 s[24:25], s[0:1], 0x0
	s_add_i32 s4, s22, s23
	s_min_i32 s26, s4, s11
	s_cmp_gt_i32 s11, s4
	s_mov_b32 s33, 0
	s_cbranch_scc1 .LBB44_5
; %bb.4:
	s_abs_i32 s5, s8
	s_mul_hi_u32 s6, s5, s9
	s_mul_i32 s6, s6, s3
	s_sub_i32 s5, s5, s6
	s_ashr_i32 s4, s8, 31
	s_sub_i32 s6, s5, s3
	s_cmp_ge_u32 s5, s3
	s_cselect_b32 s5, s6, s5
	s_sub_i32 s6, s5, s3
	s_cmp_ge_u32 s5, s3
	s_cselect_b32 s3, s6, s5
	s_xor_b32 s3, s3, s4
	s_sub_i32 s33, s3, s4
	s_cmp_lg_u32 s33, 0
	s_cselect_b64 s[4:5], -1, 0
	s_cmp_lg_u64 s[4:5], 0
	s_subb_u32 s26, s26, 0
.LBB44_5:
	s_load_dwordx8 s[4:11], s[0:1], 0x28
	s_waitcnt lgkmcnt(0)
	s_mul_i32 s0, s2, s4
	s_ashr_i32 s1, s0, 31
	s_lshl_b64 s[0:1], s[0:1], 2
	s_add_u32 s4, s18, s0
	s_addc_u32 s5, s19, s1
	s_lshl_b64 s[0:1], s[30:31], 2
	s_add_u32 s34, s4, s0
	s_addc_u32 s35, s5, s1
	s_ashr_i32 s0, s28, 31
	s_mul_hi_u32 s2, s10, s28
	s_mul_i32 s0, s10, s0
	s_mul_i32 s3, s11, s28
	s_add_i32 s0, s2, s0
	s_add_i32 s1, s0, s3
	s_mul_i32 s0, s10, s28
	s_lshl_b64 s[0:1], s[0:1], 1
	s_add_u32 s30, s16, s0
	s_addc_u32 s31, s17, s1
	s_cmp_ge_i32 s22, s26
	s_cbranch_scc1 .LBB44_14
; %bb.6:
	s_cmp_gt_i32 s14, 0
	s_cselect_b64 s[2:3], -1, 0
	v_cndmask_b32_e64 v1, 0, 1, s[2:3]
	v_cmp_gt_i32_e64 s[0:1], s15, v0
	v_cmp_ne_u32_e64 s[2:3], 1, v1
	s_branch .LBB44_8
.LBB44_7:                               ;   in Loop: Header=BB44_8 Depth=1
	s_add_i32 s22, s22, 1
	s_cmp_ge_i32 s22, s26
	s_cbranch_scc1 .LBB44_14
.LBB44_8:                               ; =>This Loop Header: Depth=1
                                        ;     Child Loop BB44_11 Depth 2
                                        ;       Child Loop BB44_13 Depth 3
	s_and_b64 vcc, exec, s[2:3]
	s_cbranch_vccnz .LBB44_7
; %bb.9:                                ;   in Loop: Header=BB44_8 Depth=1
	s_ashr_i32 s23, s22, 31
	s_lshl_b64 s[4:5], s[22:23], 2
	s_add_u32 s4, s34, s4
	s_addc_u32 s5, s35, s5
	s_load_dword s4, s[4:5], 0x0
	s_mul_i32 s16, s22, s14
	s_mov_b32 s38, 0
	s_waitcnt lgkmcnt(0)
	s_ashr_i32 s5, s4, 31
	s_mul_hi_u32 s17, s6, s4
	s_mul_i32 s5, s6, s5
	s_mul_i32 s18, s7, s4
	s_add_i32 s5, s17, s5
	s_mul_i32 s4, s6, s4
	s_add_i32 s5, s5, s18
	s_add_u32 s23, s24, s4
	s_addc_u32 s27, s25, s5
	s_ashr_i32 s4, s16, 31
	s_mul_i32 s4, s10, s4
	s_mul_hi_u32 s5, s10, s16
	s_add_i32 s4, s5, s4
	s_mul_i32 s5, s11, s16
	s_add_i32 s5, s4, s5
	s_mul_i32 s4, s10, s16
	s_lshl_b64 s[4:5], s[4:5], 1
	s_add_u32 s36, s30, s4
	s_addc_u32 s37, s31, s5
	s_branch .LBB44_11
.LBB44_10:                              ;   in Loop: Header=BB44_11 Depth=2
	s_or_b64 exec, exec, s[4:5]
	s_add_i32 s38, s38, 1
	s_cmp_eq_u32 s38, s14
	s_cbranch_scc1 .LBB44_7
.LBB44_11:                              ;   Parent Loop BB44_8 Depth=1
                                        ; =>  This Loop Header: Depth=2
                                        ;       Child Loop BB44_13 Depth 3
	s_and_saveexec_b64 s[4:5], s[0:1]
	s_cbranch_execz .LBB44_10
; %bb.12:                               ;   in Loop: Header=BB44_11 Depth=2
	s_mul_i32 s16, s9, s38
	s_mul_hi_u32 s17, s8, s38
	s_add_i32 s17, s17, s16
	s_mul_i32 s16, s8, s38
	s_load_dword s28, s[20:21], 0xc
	s_add_u32 s16, s23, s16
	s_mul_i32 s18, s11, s38
	s_mul_hi_u32 s19, s10, s38
	s_load_dword s39, s[12:13], 0x0
	s_addc_u32 s17, s27, s17
	s_add_i32 s19, s19, s18
	s_mul_i32 s18, s10, s38
	s_lshl_b64 s[18:19], s[18:19], 1
	s_add_u32 s18, s36, s18
	s_addc_u32 s19, s37, s19
	s_waitcnt lgkmcnt(0)
	s_and_b32 s40, s28, 0xffff
	s_mov_b64 s[28:29], 0
	v_mov_b32_e32 v2, v0
.LBB44_13:                              ;   Parent Loop BB44_8 Depth=1
                                        ;     Parent Loop BB44_11 Depth=2
                                        ; =>    This Inner Loop Header: Depth=3
	v_ashrrev_i32_e32 v3, 31, v2
	v_lshl_add_u64 v[4:5], s[16:17], 0, v[2:3]
	global_load_ubyte v1, v[4:5], off
	v_lshl_add_u64 v[4:5], v[2:3], 1, s[18:19]
	v_add_u32_e32 v2, s40, v2
	v_cmp_le_i32_e32 vcc, s15, v2
	s_or_b64 s[28:29], vcc, s[28:29]
	s_waitcnt vmcnt(0)
	v_cvt_f32_fp8_e32 v1, v1
	v_fma_mixlo_f16 v1, s39, v1, 0
	global_store_short v[4:5], v1, off
	s_andn2_b64 exec, exec, s[28:29]
	s_cbranch_execnz .LBB44_13
	s_branch .LBB44_10
.LBB44_14:
	s_cmp_lg_u32 s33, 0
	s_cbranch_scc0 .LBB44_21
; %bb.15:
	s_cmp_lt_i32 s33, 1
	s_cbranch_scc1 .LBB44_21
; %bb.16:
	s_ashr_i32 s27, s26, 31
	s_lshl_b64 s[0:1], s[26:27], 2
	s_add_u32 s0, s34, s0
	s_addc_u32 s1, s35, s1
	s_load_dword s0, s[0:1], 0x0
	s_mul_i32 s2, s26, s14
	v_cmp_gt_i32_e32 vcc, s15, v0
	s_mov_b32 s23, 0
	s_waitcnt lgkmcnt(0)
	s_ashr_i32 s1, s0, 31
	s_mul_hi_u32 s3, s6, s0
	s_mul_i32 s1, s6, s1
	s_mul_i32 s4, s7, s0
	s_add_i32 s1, s3, s1
	s_mul_i32 s0, s6, s0
	s_add_i32 s1, s1, s4
	s_add_u32 s14, s24, s0
	s_addc_u32 s18, s25, s1
	s_ashr_i32 s0, s2, 31
	s_mul_i32 s0, s10, s0
	s_mul_hi_u32 s1, s10, s2
	s_add_i32 s0, s1, s0
	s_mul_i32 s1, s11, s2
	s_add_i32 s1, s0, s1
	s_mul_i32 s0, s10, s2
	s_lshl_b64 s[0:1], s[0:1], 1
	s_add_u32 s19, s30, s0
	s_addc_u32 s22, s31, s1
	s_branch .LBB44_18
.LBB44_17:                              ;   in Loop: Header=BB44_18 Depth=1
	s_or_b64 exec, exec, s[2:3]
	s_add_i32 s23, s23, 1
	s_cmp_lg_u32 s23, s33
	s_cbranch_scc0 .LBB44_21
.LBB44_18:                              ; =>This Loop Header: Depth=1
                                        ;     Child Loop BB44_20 Depth 2
	s_and_saveexec_b64 s[2:3], vcc
	s_cbranch_execz .LBB44_17
; %bb.19:                               ;   in Loop: Header=BB44_18 Depth=1
	s_mul_i32 s0, s9, s23
	s_mul_hi_u32 s1, s8, s23
	s_add_i32 s1, s1, s0
	s_mul_i32 s0, s8, s23
	s_add_u32 s4, s14, s0
	s_load_dword s16, s[20:21], 0xc
	s_addc_u32 s5, s18, s1
	s_mul_i32 s0, s11, s23
	s_mul_hi_u32 s1, s10, s23
	s_load_dword s24, s[12:13], 0x0
	s_add_i32 s1, s1, s0
	s_mul_i32 s0, s10, s23
	s_lshl_b64 s[0:1], s[0:1], 1
	s_add_u32 s6, s19, s0
	s_addc_u32 s7, s22, s1
	s_waitcnt lgkmcnt(0)
	s_and_b32 s25, s16, 0xffff
	s_mov_b64 s[16:17], 0
	v_mov_b32_e32 v2, v0
.LBB44_20:                              ;   Parent Loop BB44_18 Depth=1
                                        ; =>  This Inner Loop Header: Depth=2
	v_ashrrev_i32_e32 v3, 31, v2
	v_lshl_add_u64 v[4:5], s[4:5], 0, v[2:3]
	global_load_ubyte v1, v[4:5], off
	v_lshl_add_u64 v[4:5], v[2:3], 1, s[6:7]
	v_add_u32_e32 v2, s25, v2
	v_cmp_le_i32_e64 s[0:1], s15, v2
	s_or_b64 s[16:17], s[0:1], s[16:17]
	s_waitcnt vmcnt(0)
	v_cvt_f32_fp8_e32 v1, v1
	v_fma_mixlo_f16 v1, s24, v1, 0
	global_store_short v[4:5], v1, off
	s_andn2_b64 exec, exec, s[16:17]
	s_cbranch_execnz .LBB44_20
	s_branch .LBB44_17
.LBB44_21:
	s_endpgm
	.section	.rodata,"a",@progbits
	.p2align	6, 0x0
	.amdhsa_kernel _ZN4vllm30gather_and_maybe_dequant_cacheIthLNS_18Fp8KVCacheDataTypeE1EEEvPKT0_PT_PKiS8_iillllPKfS8_
		.amdhsa_group_segment_fixed_size 0
		.amdhsa_private_segment_fixed_size 0
		.amdhsa_kernarg_size 344
		.amdhsa_user_sgpr_count 2
		.amdhsa_user_sgpr_dispatch_ptr 0
		.amdhsa_user_sgpr_queue_ptr 0
		.amdhsa_user_sgpr_kernarg_segment_ptr 1
		.amdhsa_user_sgpr_dispatch_id 0
		.amdhsa_user_sgpr_kernarg_preload_length 0
		.amdhsa_user_sgpr_kernarg_preload_offset 0
		.amdhsa_user_sgpr_private_segment_size 0
		.amdhsa_uses_dynamic_stack 0
		.amdhsa_enable_private_segment 0
		.amdhsa_system_sgpr_workgroup_id_x 1
		.amdhsa_system_sgpr_workgroup_id_y 1
		.amdhsa_system_sgpr_workgroup_id_z 0
		.amdhsa_system_sgpr_workgroup_info 0
		.amdhsa_system_vgpr_workitem_id 0
		.amdhsa_next_free_vgpr 6
		.amdhsa_next_free_sgpr 41
		.amdhsa_accum_offset 8
		.amdhsa_reserve_vcc 1
		.amdhsa_float_round_mode_32 0
		.amdhsa_float_round_mode_16_64 0
		.amdhsa_float_denorm_mode_32 3
		.amdhsa_float_denorm_mode_16_64 3
		.amdhsa_dx10_clamp 1
		.amdhsa_ieee_mode 1
		.amdhsa_fp16_overflow 0
		.amdhsa_tg_split 0
		.amdhsa_exception_fp_ieee_invalid_op 0
		.amdhsa_exception_fp_denorm_src 0
		.amdhsa_exception_fp_ieee_div_zero 0
		.amdhsa_exception_fp_ieee_overflow 0
		.amdhsa_exception_fp_ieee_underflow 0
		.amdhsa_exception_fp_ieee_inexact 0
		.amdhsa_exception_int_div_zero 0
	.end_amdhsa_kernel
	.section	.text._ZN4vllm30gather_and_maybe_dequant_cacheIthLNS_18Fp8KVCacheDataTypeE1EEEvPKT0_PT_PKiS8_iillllPKfS8_,"axG",@progbits,_ZN4vllm30gather_and_maybe_dequant_cacheIthLNS_18Fp8KVCacheDataTypeE1EEEvPKT0_PT_PKiS8_iillllPKfS8_,comdat
.Lfunc_end44:
	.size	_ZN4vllm30gather_and_maybe_dequant_cacheIthLNS_18Fp8KVCacheDataTypeE1EEEvPKT0_PT_PKiS8_iillllPKfS8_, .Lfunc_end44-_ZN4vllm30gather_and_maybe_dequant_cacheIthLNS_18Fp8KVCacheDataTypeE1EEEvPKT0_PT_PKiS8_iillllPKfS8_
                                        ; -- End function
	.set _ZN4vllm30gather_and_maybe_dequant_cacheIthLNS_18Fp8KVCacheDataTypeE1EEEvPKT0_PT_PKiS8_iillllPKfS8_.num_vgpr, 6
	.set _ZN4vllm30gather_and_maybe_dequant_cacheIthLNS_18Fp8KVCacheDataTypeE1EEEvPKT0_PT_PKiS8_iillllPKfS8_.num_agpr, 0
	.set _ZN4vllm30gather_and_maybe_dequant_cacheIthLNS_18Fp8KVCacheDataTypeE1EEEvPKT0_PT_PKiS8_iillllPKfS8_.numbered_sgpr, 41
	.set _ZN4vllm30gather_and_maybe_dequant_cacheIthLNS_18Fp8KVCacheDataTypeE1EEEvPKT0_PT_PKiS8_iillllPKfS8_.num_named_barrier, 0
	.set _ZN4vllm30gather_and_maybe_dequant_cacheIthLNS_18Fp8KVCacheDataTypeE1EEEvPKT0_PT_PKiS8_iillllPKfS8_.private_seg_size, 0
	.set _ZN4vllm30gather_and_maybe_dequant_cacheIthLNS_18Fp8KVCacheDataTypeE1EEEvPKT0_PT_PKiS8_iillllPKfS8_.uses_vcc, 1
	.set _ZN4vllm30gather_and_maybe_dequant_cacheIthLNS_18Fp8KVCacheDataTypeE1EEEvPKT0_PT_PKiS8_iillllPKfS8_.uses_flat_scratch, 0
	.set _ZN4vllm30gather_and_maybe_dequant_cacheIthLNS_18Fp8KVCacheDataTypeE1EEEvPKT0_PT_PKiS8_iillllPKfS8_.has_dyn_sized_stack, 0
	.set _ZN4vllm30gather_and_maybe_dequant_cacheIthLNS_18Fp8KVCacheDataTypeE1EEEvPKT0_PT_PKiS8_iillllPKfS8_.has_recursion, 0
	.set _ZN4vllm30gather_and_maybe_dequant_cacheIthLNS_18Fp8KVCacheDataTypeE1EEEvPKT0_PT_PKiS8_iillllPKfS8_.has_indirect_call, 0
	.section	.AMDGPU.csdata,"",@progbits
; Kernel info:
; codeLenInByte = 1324
; TotalNumSgprs: 47
; NumVgprs: 6
; NumAgprs: 0
; TotalNumVgprs: 6
; ScratchSize: 0
; MemoryBound: 0
; FloatMode: 240
; IeeeMode: 1
; LDSByteSize: 0 bytes/workgroup (compile time only)
; SGPRBlocks: 5
; VGPRBlocks: 0
; NumSGPRsForWavesPerEU: 47
; NumVGPRsForWavesPerEU: 6
; AccumOffset: 8
; Occupancy: 8
; WaveLimiterHint : 1
; COMPUTE_PGM_RSRC2:SCRATCH_EN: 0
; COMPUTE_PGM_RSRC2:USER_SGPR: 2
; COMPUTE_PGM_RSRC2:TRAP_HANDLER: 0
; COMPUTE_PGM_RSRC2:TGID_X_EN: 1
; COMPUTE_PGM_RSRC2:TGID_Y_EN: 1
; COMPUTE_PGM_RSRC2:TGID_Z_EN: 0
; COMPUTE_PGM_RSRC2:TIDIG_COMP_CNT: 0
; COMPUTE_PGM_RSRC3_GFX90A:ACCUM_OFFSET: 1
; COMPUTE_PGM_RSRC3_GFX90A:TG_SPLIT: 0
	.section	.text._ZN4vllm30gather_and_maybe_dequant_cacheI14__hip_bfloat16hLNS_18Fp8KVCacheDataTypeE1EEEvPKT0_PT_PKiS9_iillllPKfS9_,"axG",@progbits,_ZN4vllm30gather_and_maybe_dequant_cacheI14__hip_bfloat16hLNS_18Fp8KVCacheDataTypeE1EEEvPKT0_PT_PKiS9_iillllPKfS9_,comdat
	.protected	_ZN4vllm30gather_and_maybe_dequant_cacheI14__hip_bfloat16hLNS_18Fp8KVCacheDataTypeE1EEEvPKT0_PT_PKiS9_iillllPKfS9_ ; -- Begin function _ZN4vllm30gather_and_maybe_dequant_cacheI14__hip_bfloat16hLNS_18Fp8KVCacheDataTypeE1EEEvPKT0_PT_PKiS9_iillllPKfS9_
	.globl	_ZN4vllm30gather_and_maybe_dequant_cacheI14__hip_bfloat16hLNS_18Fp8KVCacheDataTypeE1EEEvPKT0_PT_PKiS9_iillllPKfS9_
	.p2align	8
	.type	_ZN4vllm30gather_and_maybe_dequant_cacheI14__hip_bfloat16hLNS_18Fp8KVCacheDataTypeE1EEEvPKT0_PT_PKiS9_iillllPKfS9_,@function
_ZN4vllm30gather_and_maybe_dequant_cacheI14__hip_bfloat16hLNS_18Fp8KVCacheDataTypeE1EEEvPKT0_PT_PKiS9_iillllPKfS9_: ; @_ZN4vllm30gather_and_maybe_dequant_cacheI14__hip_bfloat16hLNS_18Fp8KVCacheDataTypeE1EEEvPKT0_PT_PKiS9_iillllPKfS9_
; %bb.0:
	s_load_dwordx4 s[12:15], s[0:1], 0x18
	s_load_dword s5, s[0:1], 0x5c
	s_mov_b32 s4, s3
	s_mov_b32 s3, 0
	s_add_u32 s20, s0, 0x58
	s_addc_u32 s21, s1, 0
	s_lshl_b64 s[6:7], s[2:3], 2
	s_waitcnt lgkmcnt(0)
	s_add_u32 s8, s12, s6
	s_addc_u32 s9, s13, s7
	s_abs_i32 s3, s14
	v_cvt_f32_u32_e32 v1, s3
	s_load_dwordx2 s[28:29], s[8:9], 0x0
	s_ashr_i32 s10, s14, 31
	v_rcp_iflag_f32_e32 v1, v1
	s_waitcnt lgkmcnt(0)
	s_sub_i32 s8, s29, s28
	s_add_i32 s9, s14, s8
	v_mul_f32_e32 v1, 0x4f7ffffe, v1
	v_cvt_u32_f32_e32 v1, v1
	s_add_i32 s9, s9, -1
	s_ashr_i32 s11, s9, 31
	s_abs_i32 s12, s9
	s_sub_i32 s9, 0, s3
	v_readfirstlane_b32 s13, v1
	s_mul_i32 s9, s9, s13
	s_mul_hi_u32 s9, s13, s9
	s_add_i32 s9, s13, s9
	s_mul_hi_u32 s13, s12, s9
	s_mul_i32 s16, s13, s3
	s_sub_i32 s12, s12, s16
	s_xor_b32 s11, s11, s10
	s_add_i32 s16, s13, 1
	s_sub_i32 s17, s12, s3
	s_cmp_ge_u32 s12, s3
	s_cselect_b32 s13, s16, s13
	s_cselect_b32 s12, s17, s12
	s_add_i32 s16, s13, 1
	s_cmp_ge_u32 s12, s3
	s_cselect_b32 s12, s16, s13
	s_abs_i32 s13, s5
	v_cvt_f32_u32_e32 v1, s13
	s_xor_b32 s12, s12, s11
	s_sub_i32 s11, s12, s11
	s_sub_i32 s16, 0, s13
	v_rcp_iflag_f32_e32 v1, v1
	s_add_i32 s12, s5, s11
	s_add_i32 s12, s12, -1
	s_xor_b32 s5, s12, s5
	v_mul_f32_e32 v1, 0x4f7ffffe, v1
	v_cvt_u32_f32_e32 v1, v1
	s_abs_i32 s12, s12
	s_ashr_i32 s5, s5, 31
	v_readfirstlane_b32 s17, v1
	s_mul_i32 s16, s16, s17
	s_mul_hi_u32 s16, s17, s16
	s_add_i32 s17, s17, s16
	s_mul_hi_u32 s16, s12, s17
	s_mul_i32 s17, s16, s13
	s_sub_i32 s12, s12, s17
	s_add_i32 s17, s16, 1
	s_sub_i32 s18, s12, s13
	s_cmp_ge_u32 s12, s13
	s_cselect_b32 s16, s17, s16
	s_cselect_b32 s12, s18, s12
	s_add_i32 s17, s16, 1
	s_cmp_ge_u32 s12, s13
	s_cselect_b32 s12, s17, s16
	s_xor_b32 s12, s12, s5
	s_sub_i32 s23, s12, s5
	s_mul_i32 s22, s23, s4
	s_cmp_ge_i32 s22, s11
	s_cbranch_scc1 .LBB45_21
; %bb.1:
	s_load_dwordx2 s[4:5], s[0:1], 0x50
	s_load_dwordx4 s[16:19], s[0:1], 0x8
	s_mov_b64 s[30:31], 0
	s_waitcnt lgkmcnt(0)
	s_cmp_eq_u64 s[4:5], 0
	s_cbranch_scc1 .LBB45_3
; %bb.2:
	s_add_u32 s4, s4, s6
	s_addc_u32 s5, s5, s7
	s_load_dword s4, s[4:5], 0x0
	s_waitcnt lgkmcnt(0)
	s_ashr_i32 s5, s4, 31
	s_abs_i32 s4, s4
	s_mul_hi_u32 s6, s4, s9
	s_mul_i32 s7, s6, s3
	s_sub_i32 s4, s4, s7
	s_xor_b32 s5, s5, s10
	s_add_i32 s10, s6, 1
	s_sub_i32 s7, s4, s3
	s_cmp_ge_u32 s4, s3
	s_cselect_b32 s6, s10, s6
	s_cselect_b32 s4, s7, s4
	s_add_i32 s7, s6, 1
	s_cmp_ge_u32 s4, s3
	s_cselect_b32 s4, s7, s6
	s_xor_b32 s4, s4, s5
	s_sub_i32 s30, s4, s5
	s_ashr_i32 s31, s30, 31
.LBB45_3:
	s_load_dwordx2 s[12:13], s[0:1], 0x48
	s_load_dwordx2 s[24:25], s[0:1], 0x0
	s_add_i32 s4, s22, s23
	s_min_i32 s26, s4, s11
	s_cmp_gt_i32 s11, s4
	s_mov_b32 s33, 0
	s_cbranch_scc1 .LBB45_5
; %bb.4:
	s_abs_i32 s5, s8
	s_mul_hi_u32 s6, s5, s9
	s_mul_i32 s6, s6, s3
	s_sub_i32 s5, s5, s6
	s_ashr_i32 s4, s8, 31
	s_sub_i32 s6, s5, s3
	s_cmp_ge_u32 s5, s3
	s_cselect_b32 s5, s6, s5
	s_sub_i32 s6, s5, s3
	s_cmp_ge_u32 s5, s3
	s_cselect_b32 s3, s6, s5
	s_xor_b32 s3, s3, s4
	s_sub_i32 s33, s3, s4
	s_cmp_lg_u32 s33, 0
	s_cselect_b64 s[4:5], -1, 0
	s_cmp_lg_u64 s[4:5], 0
	s_subb_u32 s26, s26, 0
.LBB45_5:
	s_load_dwordx8 s[4:11], s[0:1], 0x28
	s_waitcnt lgkmcnt(0)
	s_mul_i32 s0, s2, s4
	s_ashr_i32 s1, s0, 31
	s_lshl_b64 s[0:1], s[0:1], 2
	s_add_u32 s4, s18, s0
	s_addc_u32 s5, s19, s1
	s_lshl_b64 s[0:1], s[30:31], 2
	s_add_u32 s34, s4, s0
	s_addc_u32 s35, s5, s1
	s_ashr_i32 s0, s28, 31
	s_mul_hi_u32 s2, s10, s28
	s_mul_i32 s0, s10, s0
	s_mul_i32 s3, s11, s28
	s_add_i32 s0, s2, s0
	s_add_i32 s1, s0, s3
	s_mul_i32 s0, s10, s28
	s_lshl_b64 s[0:1], s[0:1], 1
	s_add_u32 s30, s16, s0
	s_addc_u32 s31, s17, s1
	s_cmp_ge_i32 s22, s26
	s_cbranch_scc1 .LBB45_14
; %bb.6:
	s_cmp_gt_i32 s14, 0
	s_cselect_b64 s[2:3], -1, 0
	v_cndmask_b32_e64 v1, 0, 1, s[2:3]
	v_cmp_gt_i32_e64 s[0:1], s15, v0
	v_cmp_ne_u32_e64 s[2:3], 1, v1
	s_branch .LBB45_8
.LBB45_7:                               ;   in Loop: Header=BB45_8 Depth=1
	s_add_i32 s22, s22, 1
	s_cmp_ge_i32 s22, s26
	s_cbranch_scc1 .LBB45_14
.LBB45_8:                               ; =>This Loop Header: Depth=1
                                        ;     Child Loop BB45_11 Depth 2
                                        ;       Child Loop BB45_13 Depth 3
	s_and_b64 vcc, exec, s[2:3]
	s_cbranch_vccnz .LBB45_7
; %bb.9:                                ;   in Loop: Header=BB45_8 Depth=1
	s_ashr_i32 s23, s22, 31
	s_lshl_b64 s[4:5], s[22:23], 2
	s_add_u32 s4, s34, s4
	s_addc_u32 s5, s35, s5
	s_load_dword s4, s[4:5], 0x0
	s_mul_i32 s16, s22, s14
	s_mov_b32 s38, 0
	s_waitcnt lgkmcnt(0)
	s_ashr_i32 s5, s4, 31
	s_mul_hi_u32 s17, s6, s4
	s_mul_i32 s5, s6, s5
	s_mul_i32 s18, s7, s4
	s_add_i32 s5, s17, s5
	s_mul_i32 s4, s6, s4
	s_add_i32 s5, s5, s18
	s_add_u32 s23, s24, s4
	s_addc_u32 s27, s25, s5
	s_ashr_i32 s4, s16, 31
	s_mul_i32 s4, s10, s4
	s_mul_hi_u32 s5, s10, s16
	s_add_i32 s4, s5, s4
	s_mul_i32 s5, s11, s16
	s_add_i32 s5, s4, s5
	s_mul_i32 s4, s10, s16
	s_lshl_b64 s[4:5], s[4:5], 1
	s_add_u32 s36, s30, s4
	s_addc_u32 s37, s31, s5
	s_branch .LBB45_11
.LBB45_10:                              ;   in Loop: Header=BB45_11 Depth=2
	s_or_b64 exec, exec, s[4:5]
	s_add_i32 s38, s38, 1
	s_cmp_eq_u32 s38, s14
	s_cbranch_scc1 .LBB45_7
.LBB45_11:                              ;   Parent Loop BB45_8 Depth=1
                                        ; =>  This Loop Header: Depth=2
                                        ;       Child Loop BB45_13 Depth 3
	s_and_saveexec_b64 s[4:5], s[0:1]
	s_cbranch_execz .LBB45_10
; %bb.12:                               ;   in Loop: Header=BB45_11 Depth=2
	s_mul_i32 s16, s9, s38
	s_mul_hi_u32 s17, s8, s38
	s_add_i32 s17, s17, s16
	s_mul_i32 s16, s8, s38
	s_load_dword s28, s[20:21], 0xc
	s_add_u32 s16, s23, s16
	s_mul_i32 s18, s11, s38
	s_mul_hi_u32 s19, s10, s38
	s_load_dword s39, s[12:13], 0x0
	s_addc_u32 s17, s27, s17
	s_add_i32 s19, s19, s18
	s_mul_i32 s18, s10, s38
	s_lshl_b64 s[18:19], s[18:19], 1
	s_add_u32 s18, s36, s18
	s_addc_u32 s19, s37, s19
	s_waitcnt lgkmcnt(0)
	s_and_b32 s40, s28, 0xffff
	s_mov_b64 s[28:29], 0
	v_mov_b32_e32 v2, v0
.LBB45_13:                              ;   Parent Loop BB45_8 Depth=1
                                        ;     Parent Loop BB45_11 Depth=2
                                        ; =>    This Inner Loop Header: Depth=3
	v_ashrrev_i32_e32 v3, 31, v2
	v_lshl_add_u64 v[4:5], s[16:17], 0, v[2:3]
	global_load_ubyte v1, v[4:5], off
	v_lshl_add_u64 v[4:5], v[2:3], 1, s[18:19]
	v_add_u32_e32 v2, s40, v2
	v_cmp_le_i32_e32 vcc, s15, v2
	s_or_b64 s[28:29], vcc, s[28:29]
	s_waitcnt vmcnt(0)
	v_cvt_f32_fp8_e32 v1, v1
	v_mul_f32_e32 v1, s39, v1
	v_cvt_pk_bf16_f32 v1, v1, s0
	global_store_short v[4:5], v1, off
	s_andn2_b64 exec, exec, s[28:29]
	s_cbranch_execnz .LBB45_13
	s_branch .LBB45_10
.LBB45_14:
	s_cmp_lg_u32 s33, 0
	s_cbranch_scc0 .LBB45_21
; %bb.15:
	s_cmp_lt_i32 s33, 1
	s_cbranch_scc1 .LBB45_21
; %bb.16:
	s_ashr_i32 s27, s26, 31
	s_lshl_b64 s[0:1], s[26:27], 2
	s_add_u32 s0, s34, s0
	s_addc_u32 s1, s35, s1
	s_load_dword s0, s[0:1], 0x0
	s_mul_i32 s2, s26, s14
	v_cmp_gt_i32_e32 vcc, s15, v0
	s_mov_b32 s23, 0
	s_waitcnt lgkmcnt(0)
	s_ashr_i32 s1, s0, 31
	s_mul_hi_u32 s3, s6, s0
	s_mul_i32 s1, s6, s1
	s_mul_i32 s4, s7, s0
	s_add_i32 s1, s3, s1
	s_mul_i32 s0, s6, s0
	s_add_i32 s1, s1, s4
	s_add_u32 s14, s24, s0
	s_addc_u32 s18, s25, s1
	s_ashr_i32 s0, s2, 31
	s_mul_i32 s0, s10, s0
	s_mul_hi_u32 s1, s10, s2
	s_add_i32 s0, s1, s0
	s_mul_i32 s1, s11, s2
	s_add_i32 s1, s0, s1
	s_mul_i32 s0, s10, s2
	s_lshl_b64 s[0:1], s[0:1], 1
	s_add_u32 s19, s30, s0
	s_addc_u32 s22, s31, s1
	s_branch .LBB45_18
.LBB45_17:                              ;   in Loop: Header=BB45_18 Depth=1
	s_or_b64 exec, exec, s[2:3]
	s_add_i32 s23, s23, 1
	s_cmp_lg_u32 s23, s33
	s_cbranch_scc0 .LBB45_21
.LBB45_18:                              ; =>This Loop Header: Depth=1
                                        ;     Child Loop BB45_20 Depth 2
	s_and_saveexec_b64 s[2:3], vcc
	s_cbranch_execz .LBB45_17
; %bb.19:                               ;   in Loop: Header=BB45_18 Depth=1
	s_mul_i32 s0, s9, s23
	s_mul_hi_u32 s1, s8, s23
	s_add_i32 s1, s1, s0
	s_mul_i32 s0, s8, s23
	s_add_u32 s4, s14, s0
	s_load_dword s16, s[20:21], 0xc
	s_addc_u32 s5, s18, s1
	s_mul_i32 s0, s11, s23
	s_mul_hi_u32 s1, s10, s23
	s_load_dword s24, s[12:13], 0x0
	s_add_i32 s1, s1, s0
	s_mul_i32 s0, s10, s23
	s_lshl_b64 s[0:1], s[0:1], 1
	s_add_u32 s6, s19, s0
	s_addc_u32 s7, s22, s1
	s_waitcnt lgkmcnt(0)
	s_and_b32 s25, s16, 0xffff
	s_mov_b64 s[16:17], 0
	v_mov_b32_e32 v2, v0
.LBB45_20:                              ;   Parent Loop BB45_18 Depth=1
                                        ; =>  This Inner Loop Header: Depth=2
	v_ashrrev_i32_e32 v3, 31, v2
	v_lshl_add_u64 v[4:5], s[4:5], 0, v[2:3]
	global_load_ubyte v1, v[4:5], off
	v_lshl_add_u64 v[4:5], v[2:3], 1, s[6:7]
	v_add_u32_e32 v2, s25, v2
	v_cmp_le_i32_e64 s[0:1], s15, v2
	s_or_b64 s[16:17], s[0:1], s[16:17]
	s_waitcnt vmcnt(0)
	v_cvt_f32_fp8_e32 v1, v1
	v_mul_f32_e32 v1, s24, v1
	v_cvt_pk_bf16_f32 v1, v1, s0
	global_store_short v[4:5], v1, off
	s_andn2_b64 exec, exec, s[16:17]
	s_cbranch_execnz .LBB45_20
	s_branch .LBB45_17
.LBB45_21:
	s_endpgm
	.section	.rodata,"a",@progbits
	.p2align	6, 0x0
	.amdhsa_kernel _ZN4vllm30gather_and_maybe_dequant_cacheI14__hip_bfloat16hLNS_18Fp8KVCacheDataTypeE1EEEvPKT0_PT_PKiS9_iillllPKfS9_
		.amdhsa_group_segment_fixed_size 0
		.amdhsa_private_segment_fixed_size 0
		.amdhsa_kernarg_size 344
		.amdhsa_user_sgpr_count 2
		.amdhsa_user_sgpr_dispatch_ptr 0
		.amdhsa_user_sgpr_queue_ptr 0
		.amdhsa_user_sgpr_kernarg_segment_ptr 1
		.amdhsa_user_sgpr_dispatch_id 0
		.amdhsa_user_sgpr_kernarg_preload_length 0
		.amdhsa_user_sgpr_kernarg_preload_offset 0
		.amdhsa_user_sgpr_private_segment_size 0
		.amdhsa_uses_dynamic_stack 0
		.amdhsa_enable_private_segment 0
		.amdhsa_system_sgpr_workgroup_id_x 1
		.amdhsa_system_sgpr_workgroup_id_y 1
		.amdhsa_system_sgpr_workgroup_id_z 0
		.amdhsa_system_sgpr_workgroup_info 0
		.amdhsa_system_vgpr_workitem_id 0
		.amdhsa_next_free_vgpr 6
		.amdhsa_next_free_sgpr 41
		.amdhsa_accum_offset 8
		.amdhsa_reserve_vcc 1
		.amdhsa_float_round_mode_32 0
		.amdhsa_float_round_mode_16_64 0
		.amdhsa_float_denorm_mode_32 3
		.amdhsa_float_denorm_mode_16_64 3
		.amdhsa_dx10_clamp 1
		.amdhsa_ieee_mode 1
		.amdhsa_fp16_overflow 0
		.amdhsa_tg_split 0
		.amdhsa_exception_fp_ieee_invalid_op 0
		.amdhsa_exception_fp_denorm_src 0
		.amdhsa_exception_fp_ieee_div_zero 0
		.amdhsa_exception_fp_ieee_overflow 0
		.amdhsa_exception_fp_ieee_underflow 0
		.amdhsa_exception_fp_ieee_inexact 0
		.amdhsa_exception_int_div_zero 0
	.end_amdhsa_kernel
	.section	.text._ZN4vllm30gather_and_maybe_dequant_cacheI14__hip_bfloat16hLNS_18Fp8KVCacheDataTypeE1EEEvPKT0_PT_PKiS9_iillllPKfS9_,"axG",@progbits,_ZN4vllm30gather_and_maybe_dequant_cacheI14__hip_bfloat16hLNS_18Fp8KVCacheDataTypeE1EEEvPKT0_PT_PKiS9_iillllPKfS9_,comdat
.Lfunc_end45:
	.size	_ZN4vllm30gather_and_maybe_dequant_cacheI14__hip_bfloat16hLNS_18Fp8KVCacheDataTypeE1EEEvPKT0_PT_PKiS9_iillllPKfS9_, .Lfunc_end45-_ZN4vllm30gather_and_maybe_dequant_cacheI14__hip_bfloat16hLNS_18Fp8KVCacheDataTypeE1EEEvPKT0_PT_PKiS9_iillllPKfS9_
                                        ; -- End function
	.set _ZN4vllm30gather_and_maybe_dequant_cacheI14__hip_bfloat16hLNS_18Fp8KVCacheDataTypeE1EEEvPKT0_PT_PKiS9_iillllPKfS9_.num_vgpr, 6
	.set _ZN4vllm30gather_and_maybe_dequant_cacheI14__hip_bfloat16hLNS_18Fp8KVCacheDataTypeE1EEEvPKT0_PT_PKiS9_iillllPKfS9_.num_agpr, 0
	.set _ZN4vllm30gather_and_maybe_dequant_cacheI14__hip_bfloat16hLNS_18Fp8KVCacheDataTypeE1EEEvPKT0_PT_PKiS9_iillllPKfS9_.numbered_sgpr, 41
	.set _ZN4vllm30gather_and_maybe_dequant_cacheI14__hip_bfloat16hLNS_18Fp8KVCacheDataTypeE1EEEvPKT0_PT_PKiS9_iillllPKfS9_.num_named_barrier, 0
	.set _ZN4vllm30gather_and_maybe_dequant_cacheI14__hip_bfloat16hLNS_18Fp8KVCacheDataTypeE1EEEvPKT0_PT_PKiS9_iillllPKfS9_.private_seg_size, 0
	.set _ZN4vllm30gather_and_maybe_dequant_cacheI14__hip_bfloat16hLNS_18Fp8KVCacheDataTypeE1EEEvPKT0_PT_PKiS9_iillllPKfS9_.uses_vcc, 1
	.set _ZN4vllm30gather_and_maybe_dequant_cacheI14__hip_bfloat16hLNS_18Fp8KVCacheDataTypeE1EEEvPKT0_PT_PKiS9_iillllPKfS9_.uses_flat_scratch, 0
	.set _ZN4vllm30gather_and_maybe_dequant_cacheI14__hip_bfloat16hLNS_18Fp8KVCacheDataTypeE1EEEvPKT0_PT_PKiS9_iillllPKfS9_.has_dyn_sized_stack, 0
	.set _ZN4vllm30gather_and_maybe_dequant_cacheI14__hip_bfloat16hLNS_18Fp8KVCacheDataTypeE1EEEvPKT0_PT_PKiS9_iillllPKfS9_.has_recursion, 0
	.set _ZN4vllm30gather_and_maybe_dequant_cacheI14__hip_bfloat16hLNS_18Fp8KVCacheDataTypeE1EEEvPKT0_PT_PKiS9_iillllPKfS9_.has_indirect_call, 0
	.section	.AMDGPU.csdata,"",@progbits
; Kernel info:
; codeLenInByte = 1332
; TotalNumSgprs: 47
; NumVgprs: 6
; NumAgprs: 0
; TotalNumVgprs: 6
; ScratchSize: 0
; MemoryBound: 0
; FloatMode: 240
; IeeeMode: 1
; LDSByteSize: 0 bytes/workgroup (compile time only)
; SGPRBlocks: 5
; VGPRBlocks: 0
; NumSGPRsForWavesPerEU: 47
; NumVGPRsForWavesPerEU: 6
; AccumOffset: 8
; Occupancy: 8
; WaveLimiterHint : 1
; COMPUTE_PGM_RSRC2:SCRATCH_EN: 0
; COMPUTE_PGM_RSRC2:USER_SGPR: 2
; COMPUTE_PGM_RSRC2:TRAP_HANDLER: 0
; COMPUTE_PGM_RSRC2:TGID_X_EN: 1
; COMPUTE_PGM_RSRC2:TGID_Y_EN: 1
; COMPUTE_PGM_RSRC2:TGID_Z_EN: 0
; COMPUTE_PGM_RSRC2:TIDIG_COMP_CNT: 0
; COMPUTE_PGM_RSRC3_GFX90A:ACCUM_OFFSET: 1
; COMPUTE_PGM_RSRC3_GFX90A:TG_SPLIT: 0
	.section	.text._ZN4vllm15cp_gather_cacheIjEEvPKT_PS1_PKiS6_iillllS6_,"axG",@progbits,_ZN4vllm15cp_gather_cacheIjEEvPKT_PS1_PKiS6_iillllS6_,comdat
	.protected	_ZN4vllm15cp_gather_cacheIjEEvPKT_PS1_PKiS6_iillllS6_ ; -- Begin function _ZN4vllm15cp_gather_cacheIjEEvPKT_PS1_PKiS6_iillllS6_
	.globl	_ZN4vllm15cp_gather_cacheIjEEvPKT_PS1_PKiS6_iillllS6_
	.p2align	8
	.type	_ZN4vllm15cp_gather_cacheIjEEvPKT_PS1_PKiS6_iillllS6_,@function
_ZN4vllm15cp_gather_cacheIjEEvPKT_PS1_PKiS6_iillllS6_: ; @_ZN4vllm15cp_gather_cacheIjEEvPKT_PS1_PKiS6_iillllS6_
; %bb.0:
	s_load_dwordx2 s[8:9], s[0:1], 0x18
	s_load_dword s5, s[0:1], 0x54
	s_mov_b32 s4, s3
	s_mov_b32 s3, 0
	s_add_u32 s16, s0, 0x50
	s_addc_u32 s17, s1, 0
	s_lshl_b64 s[6:7], s[2:3], 2
	s_waitcnt lgkmcnt(0)
	s_add_u32 s8, s8, s6
	s_addc_u32 s9, s9, s7
	s_abs_i32 s3, s5
	v_cvt_f32_u32_e32 v1, s3
	s_load_dwordx2 s[20:21], s[8:9], 0x0
	s_sub_i32 s10, 0, s3
	v_rcp_iflag_f32_e32 v1, v1
	s_waitcnt lgkmcnt(0)
	s_sub_i32 s8, s21, s20
	s_add_i32 s9, s5, s8
	v_mul_f32_e32 v1, 0x4f7ffffe, v1
	v_cvt_u32_f32_e32 v1, v1
	s_add_i32 s9, s9, -1
	s_xor_b32 s5, s9, s5
	s_abs_i32 s9, s9
	v_readfirstlane_b32 s11, v1
	s_mul_i32 s10, s10, s11
	s_mul_hi_u32 s10, s11, s10
	s_add_i32 s11, s11, s10
	s_mul_hi_u32 s10, s9, s11
	s_mul_i32 s11, s10, s3
	s_sub_i32 s9, s9, s11
	s_ashr_i32 s5, s5, 31
	s_add_i32 s11, s10, 1
	s_sub_i32 s12, s9, s3
	s_cmp_ge_u32 s9, s3
	s_cselect_b32 s10, s11, s10
	s_cselect_b32 s9, s12, s9
	s_add_i32 s11, s10, 1
	s_cmp_ge_u32 s9, s3
	s_cselect_b32 s3, s11, s10
	s_xor_b32 s3, s3, s5
	s_sub_i32 s9, s3, s5
	s_mul_i32 s24, s9, s4
	s_cmp_ge_i32 s24, s8
	s_cbranch_scc1 .LBB46_9
; %bb.1:
	s_load_dwordx2 s[4:5], s[0:1], 0x48
	s_mov_b32 s3, s24
	s_waitcnt lgkmcnt(0)
	s_cmp_eq_u64 s[4:5], 0
	s_cbranch_scc1 .LBB46_3
; %bb.2:
	s_add_u32 s4, s4, s6
	s_addc_u32 s5, s5, s7
	s_load_dword s3, s[4:5], 0x0
	s_waitcnt lgkmcnt(0)
	s_add_i32 s3, s3, s24
.LBB46_3:
	s_add_i32 s4, s24, s9
	s_min_i32 s25, s4, s8
	s_cmp_ge_i32 s24, s25
	s_cbranch_scc1 .LBB46_9
; %bb.4:
	s_load_dwordx8 s[4:11], s[0:1], 0x28
	s_load_dwordx4 s[12:15], s[0:1], 0x0
	s_load_dwordx2 s[22:23], s[0:1], 0x10
	s_load_dwordx2 s[18:19], s[0:1], 0x20
	s_waitcnt lgkmcnt(0)
	s_mul_i32 s0, s2, s4
	s_ashr_i32 s1, s0, 31
	s_lshl_b64 s[0:1], s[0:1], 2
	s_add_u32 s26, s22, s0
	s_addc_u32 s27, s23, s1
	s_ashr_i32 s0, s20, 31
	s_mul_hi_u32 s1, s10, s20
	s_mul_i32 s0, s10, s0
	s_add_i32 s0, s1, s0
	s_mul_i32 s1, s11, s20
	s_add_i32 s1, s0, s1
	s_mul_i32 s0, s10, s20
	s_lshl_b64 s[0:1], s[0:1], 2
	s_add_u32 s28, s14, s0
	s_addc_u32 s29, s15, s1
	s_abs_i32 s0, s18
	v_cvt_f32_u32_e32 v1, s0
	s_sub_i32 s4, 0, s0
	s_abs_i32 s2, s3
	s_xor_b32 s1, s3, s18
	v_rcp_iflag_f32_e32 v1, v1
	s_ashr_i32 s1, s1, 31
	v_cmp_gt_i32_e32 vcc, s19, v0
	v_mul_f32_e32 v1, 0x4f7ffffe, v1
	v_cvt_u32_f32_e32 v1, v1
	s_nop 0
	v_readfirstlane_b32 s5, v1
	s_mul_i32 s4, s4, s5
	s_mul_hi_u32 s4, s5, s4
	s_add_i32 s5, s5, s4
	s_mul_hi_u32 s4, s2, s5
	s_mul_i32 s5, s4, s0
	s_sub_i32 s2, s2, s5
	s_add_i32 s14, s4, 1
	s_sub_i32 s5, s2, s0
	s_cmp_ge_u32 s2, s0
	s_cselect_b32 s4, s14, s4
	s_cselect_b32 s2, s5, s2
	s_add_i32 s5, s4, 1
	s_cmp_ge_u32 s2, s0
	s_cselect_b32 s0, s5, s4
	s_xor_b32 s0, s0, s1
	s_sub_i32 s2, s0, s1
	s_mul_i32 s0, s2, s18
	s_sub_i32 s30, s3, s0
	s_branch .LBB46_6
.LBB46_5:                               ;   in Loop: Header=BB46_6 Depth=1
	s_or_b64 exec, exec, s[4:5]
	s_add_i32 s3, s30, 1
	s_cmp_eq_u32 s3, s18
	s_cselect_b64 s[0:1], -1, 0
	s_and_b64 s[4:5], s[0:1], exec
	s_cselect_b32 s30, 0, s3
	s_cmp_lg_u64 s[0:1], 0
	s_addc_u32 s2, s2, 0
	s_add_i32 s24, s24, 1
	s_cmp_lt_i32 s24, s25
	s_cbranch_scc0 .LBB46_9
.LBB46_6:                               ; =>This Loop Header: Depth=1
                                        ;     Child Loop BB46_8 Depth 2
	s_and_saveexec_b64 s[4:5], vcc
	s_cbranch_execz .LBB46_5
; %bb.7:                                ;   in Loop: Header=BB46_6 Depth=1
	s_ashr_i32 s3, s2, 31
	s_lshl_b64 s[0:1], s[2:3], 2
	s_add_u32 s0, s26, s0
	s_addc_u32 s1, s27, s1
	s_load_dword s0, s[0:1], 0x0
	v_mov_b32_e32 v2, v0
	s_load_dword s22, s[16:17], 0xc
	s_waitcnt lgkmcnt(0)
	s_ashr_i32 s1, s0, 31
	s_mul_hi_u32 s3, s6, s0
	s_mul_i32 s1, s6, s1
	s_mul_i32 s14, s7, s0
	s_add_i32 s1, s3, s1
	s_mul_i32 s0, s6, s0
	s_add_i32 s1, s1, s14
	s_lshl_b64 s[0:1], s[0:1], 2
	s_add_u32 s3, s12, s0
	s_addc_u32 s21, s13, s1
	s_ashr_i32 s0, s24, 31
	s_mul_hi_u32 s1, s10, s24
	s_mul_i32 s0, s10, s0
	s_add_i32 s0, s1, s0
	s_mul_i32 s1, s11, s24
	s_add_i32 s1, s0, s1
	s_mul_i32 s0, s10, s24
	s_lshl_b64 s[0:1], s[0:1], 2
	s_add_u32 s14, s28, s0
	s_addc_u32 s15, s29, s1
	s_ashr_i32 s0, s30, 31
	s_mul_hi_u32 s1, s8, s30
	s_mul_i32 s0, s8, s0
	s_add_i32 s0, s1, s0
	s_mul_i32 s1, s9, s30
	s_add_i32 s1, s0, s1
	s_mul_i32 s0, s8, s30
	s_lshl_b64 s[0:1], s[0:1], 2
	s_add_u32 s20, s3, s0
	s_addc_u32 s21, s21, s1
	s_and_b32 s3, s22, 0xffff
	s_mov_b64 s[22:23], 0
.LBB46_8:                               ;   Parent Loop BB46_6 Depth=1
                                        ; =>  This Inner Loop Header: Depth=2
	v_ashrrev_i32_e32 v3, 31, v2
	v_lshlrev_b64 v[4:5], 2, v[2:3]
	v_lshl_add_u64 v[6:7], s[20:21], 0, v[4:5]
	global_load_dword v1, v[6:7], off
	v_add_u32_e32 v2, s3, v2
	v_cmp_le_i32_e64 s[0:1], s19, v2
	v_lshl_add_u64 v[4:5], s[14:15], 0, v[4:5]
	s_or_b64 s[22:23], s[0:1], s[22:23]
	s_waitcnt vmcnt(0)
	global_store_dword v[4:5], v1, off
	s_andn2_b64 exec, exec, s[22:23]
	s_cbranch_execnz .LBB46_8
	s_branch .LBB46_5
.LBB46_9:
	s_endpgm
	.section	.rodata,"a",@progbits
	.p2align	6, 0x0
	.amdhsa_kernel _ZN4vllm15cp_gather_cacheIjEEvPKT_PS1_PKiS6_iillllS6_
		.amdhsa_group_segment_fixed_size 0
		.amdhsa_private_segment_fixed_size 0
		.amdhsa_kernarg_size 336
		.amdhsa_user_sgpr_count 2
		.amdhsa_user_sgpr_dispatch_ptr 0
		.amdhsa_user_sgpr_queue_ptr 0
		.amdhsa_user_sgpr_kernarg_segment_ptr 1
		.amdhsa_user_sgpr_dispatch_id 0
		.amdhsa_user_sgpr_kernarg_preload_length 0
		.amdhsa_user_sgpr_kernarg_preload_offset 0
		.amdhsa_user_sgpr_private_segment_size 0
		.amdhsa_uses_dynamic_stack 0
		.amdhsa_enable_private_segment 0
		.amdhsa_system_sgpr_workgroup_id_x 1
		.amdhsa_system_sgpr_workgroup_id_y 1
		.amdhsa_system_sgpr_workgroup_id_z 0
		.amdhsa_system_sgpr_workgroup_info 0
		.amdhsa_system_vgpr_workitem_id 0
		.amdhsa_next_free_vgpr 8
		.amdhsa_next_free_sgpr 31
		.amdhsa_accum_offset 8
		.amdhsa_reserve_vcc 1
		.amdhsa_float_round_mode_32 0
		.amdhsa_float_round_mode_16_64 0
		.amdhsa_float_denorm_mode_32 3
		.amdhsa_float_denorm_mode_16_64 3
		.amdhsa_dx10_clamp 1
		.amdhsa_ieee_mode 1
		.amdhsa_fp16_overflow 0
		.amdhsa_tg_split 0
		.amdhsa_exception_fp_ieee_invalid_op 0
		.amdhsa_exception_fp_denorm_src 0
		.amdhsa_exception_fp_ieee_div_zero 0
		.amdhsa_exception_fp_ieee_overflow 0
		.amdhsa_exception_fp_ieee_underflow 0
		.amdhsa_exception_fp_ieee_inexact 0
		.amdhsa_exception_int_div_zero 0
	.end_amdhsa_kernel
	.section	.text._ZN4vllm15cp_gather_cacheIjEEvPKT_PS1_PKiS6_iillllS6_,"axG",@progbits,_ZN4vllm15cp_gather_cacheIjEEvPKT_PS1_PKiS6_iillllS6_,comdat
.Lfunc_end46:
	.size	_ZN4vllm15cp_gather_cacheIjEEvPKT_PS1_PKiS6_iillllS6_, .Lfunc_end46-_ZN4vllm15cp_gather_cacheIjEEvPKT_PS1_PKiS6_iillllS6_
                                        ; -- End function
	.set _ZN4vllm15cp_gather_cacheIjEEvPKT_PS1_PKiS6_iillllS6_.num_vgpr, 8
	.set _ZN4vllm15cp_gather_cacheIjEEvPKT_PS1_PKiS6_iillllS6_.num_agpr, 0
	.set _ZN4vllm15cp_gather_cacheIjEEvPKT_PS1_PKiS6_iillllS6_.numbered_sgpr, 31
	.set _ZN4vllm15cp_gather_cacheIjEEvPKT_PS1_PKiS6_iillllS6_.num_named_barrier, 0
	.set _ZN4vllm15cp_gather_cacheIjEEvPKT_PS1_PKiS6_iillllS6_.private_seg_size, 0
	.set _ZN4vllm15cp_gather_cacheIjEEvPKT_PS1_PKiS6_iillllS6_.uses_vcc, 1
	.set _ZN4vllm15cp_gather_cacheIjEEvPKT_PS1_PKiS6_iillllS6_.uses_flat_scratch, 0
	.set _ZN4vllm15cp_gather_cacheIjEEvPKT_PS1_PKiS6_iillllS6_.has_dyn_sized_stack, 0
	.set _ZN4vllm15cp_gather_cacheIjEEvPKT_PS1_PKiS6_iillllS6_.has_recursion, 0
	.set _ZN4vllm15cp_gather_cacheIjEEvPKT_PS1_PKiS6_iillllS6_.has_indirect_call, 0
	.section	.AMDGPU.csdata,"",@progbits
; Kernel info:
; codeLenInByte = 788
; TotalNumSgprs: 37
; NumVgprs: 8
; NumAgprs: 0
; TotalNumVgprs: 8
; ScratchSize: 0
; MemoryBound: 0
; FloatMode: 240
; IeeeMode: 1
; LDSByteSize: 0 bytes/workgroup (compile time only)
; SGPRBlocks: 4
; VGPRBlocks: 0
; NumSGPRsForWavesPerEU: 37
; NumVGPRsForWavesPerEU: 8
; AccumOffset: 8
; Occupancy: 8
; WaveLimiterHint : 1
; COMPUTE_PGM_RSRC2:SCRATCH_EN: 0
; COMPUTE_PGM_RSRC2:USER_SGPR: 2
; COMPUTE_PGM_RSRC2:TRAP_HANDLER: 0
; COMPUTE_PGM_RSRC2:TGID_X_EN: 1
; COMPUTE_PGM_RSRC2:TGID_Y_EN: 1
; COMPUTE_PGM_RSRC2:TGID_Z_EN: 0
; COMPUTE_PGM_RSRC2:TIDIG_COMP_CNT: 0
; COMPUTE_PGM_RSRC3_GFX90A:ACCUM_OFFSET: 1
; COMPUTE_PGM_RSRC3_GFX90A:TG_SPLIT: 0
	.section	.text._ZN4vllm15cp_gather_cacheItEEvPKT_PS1_PKiS6_iillllS6_,"axG",@progbits,_ZN4vllm15cp_gather_cacheItEEvPKT_PS1_PKiS6_iillllS6_,comdat
	.protected	_ZN4vllm15cp_gather_cacheItEEvPKT_PS1_PKiS6_iillllS6_ ; -- Begin function _ZN4vllm15cp_gather_cacheItEEvPKT_PS1_PKiS6_iillllS6_
	.globl	_ZN4vllm15cp_gather_cacheItEEvPKT_PS1_PKiS6_iillllS6_
	.p2align	8
	.type	_ZN4vllm15cp_gather_cacheItEEvPKT_PS1_PKiS6_iillllS6_,@function
_ZN4vllm15cp_gather_cacheItEEvPKT_PS1_PKiS6_iillllS6_: ; @_ZN4vllm15cp_gather_cacheItEEvPKT_PS1_PKiS6_iillllS6_
; %bb.0:
	s_load_dwordx2 s[8:9], s[0:1], 0x18
	s_load_dword s5, s[0:1], 0x54
	s_mov_b32 s4, s3
	s_mov_b32 s3, 0
	s_add_u32 s16, s0, 0x50
	s_addc_u32 s17, s1, 0
	s_lshl_b64 s[6:7], s[2:3], 2
	s_waitcnt lgkmcnt(0)
	s_add_u32 s8, s8, s6
	s_addc_u32 s9, s9, s7
	s_abs_i32 s3, s5
	v_cvt_f32_u32_e32 v1, s3
	s_load_dwordx2 s[20:21], s[8:9], 0x0
	s_sub_i32 s10, 0, s3
	v_rcp_iflag_f32_e32 v1, v1
	s_waitcnt lgkmcnt(0)
	s_sub_i32 s8, s21, s20
	s_add_i32 s9, s5, s8
	v_mul_f32_e32 v1, 0x4f7ffffe, v1
	v_cvt_u32_f32_e32 v1, v1
	s_add_i32 s9, s9, -1
	s_xor_b32 s5, s9, s5
	s_abs_i32 s9, s9
	v_readfirstlane_b32 s11, v1
	s_mul_i32 s10, s10, s11
	s_mul_hi_u32 s10, s11, s10
	s_add_i32 s11, s11, s10
	s_mul_hi_u32 s10, s9, s11
	s_mul_i32 s11, s10, s3
	s_sub_i32 s9, s9, s11
	s_ashr_i32 s5, s5, 31
	s_add_i32 s11, s10, 1
	s_sub_i32 s12, s9, s3
	s_cmp_ge_u32 s9, s3
	s_cselect_b32 s10, s11, s10
	s_cselect_b32 s9, s12, s9
	s_add_i32 s11, s10, 1
	s_cmp_ge_u32 s9, s3
	s_cselect_b32 s3, s11, s10
	s_xor_b32 s3, s3, s5
	s_sub_i32 s9, s3, s5
	s_mul_i32 s24, s9, s4
	s_cmp_ge_i32 s24, s8
	s_cbranch_scc1 .LBB47_9
; %bb.1:
	s_load_dwordx2 s[4:5], s[0:1], 0x48
	s_mov_b32 s3, s24
	s_waitcnt lgkmcnt(0)
	s_cmp_eq_u64 s[4:5], 0
	s_cbranch_scc1 .LBB47_3
; %bb.2:
	s_add_u32 s4, s4, s6
	s_addc_u32 s5, s5, s7
	s_load_dword s3, s[4:5], 0x0
	s_waitcnt lgkmcnt(0)
	s_add_i32 s3, s3, s24
.LBB47_3:
	s_add_i32 s4, s24, s9
	s_min_i32 s25, s4, s8
	s_cmp_ge_i32 s24, s25
	s_cbranch_scc1 .LBB47_9
; %bb.4:
	s_load_dwordx8 s[4:11], s[0:1], 0x28
	s_load_dwordx4 s[12:15], s[0:1], 0x0
	s_load_dwordx2 s[22:23], s[0:1], 0x10
	s_load_dwordx2 s[18:19], s[0:1], 0x20
	s_waitcnt lgkmcnt(0)
	s_mul_i32 s0, s2, s4
	s_ashr_i32 s1, s0, 31
	s_lshl_b64 s[0:1], s[0:1], 2
	s_add_u32 s26, s22, s0
	s_addc_u32 s27, s23, s1
	s_ashr_i32 s0, s20, 31
	s_mul_hi_u32 s1, s10, s20
	s_mul_i32 s0, s10, s0
	s_add_i32 s0, s1, s0
	s_mul_i32 s1, s11, s20
	s_add_i32 s1, s0, s1
	s_mul_i32 s0, s10, s20
	s_lshl_b64 s[0:1], s[0:1], 1
	s_add_u32 s28, s14, s0
	s_addc_u32 s29, s15, s1
	s_abs_i32 s0, s18
	v_cvt_f32_u32_e32 v1, s0
	s_sub_i32 s4, 0, s0
	s_abs_i32 s2, s3
	s_xor_b32 s1, s3, s18
	v_rcp_iflag_f32_e32 v1, v1
	s_ashr_i32 s1, s1, 31
	v_cmp_gt_i32_e32 vcc, s19, v0
	v_mul_f32_e32 v1, 0x4f7ffffe, v1
	v_cvt_u32_f32_e32 v1, v1
	s_nop 0
	v_readfirstlane_b32 s5, v1
	s_mul_i32 s4, s4, s5
	s_mul_hi_u32 s4, s5, s4
	s_add_i32 s5, s5, s4
	s_mul_hi_u32 s4, s2, s5
	s_mul_i32 s5, s4, s0
	s_sub_i32 s2, s2, s5
	s_add_i32 s14, s4, 1
	s_sub_i32 s5, s2, s0
	s_cmp_ge_u32 s2, s0
	s_cselect_b32 s4, s14, s4
	s_cselect_b32 s2, s5, s2
	s_add_i32 s5, s4, 1
	s_cmp_ge_u32 s2, s0
	s_cselect_b32 s0, s5, s4
	s_xor_b32 s0, s0, s1
	s_sub_i32 s2, s0, s1
	s_mul_i32 s0, s2, s18
	s_sub_i32 s30, s3, s0
	s_branch .LBB47_6
.LBB47_5:                               ;   in Loop: Header=BB47_6 Depth=1
	s_or_b64 exec, exec, s[4:5]
	s_add_i32 s3, s30, 1
	s_cmp_eq_u32 s3, s18
	s_cselect_b64 s[0:1], -1, 0
	s_and_b64 s[4:5], s[0:1], exec
	s_cselect_b32 s30, 0, s3
	s_cmp_lg_u64 s[0:1], 0
	s_addc_u32 s2, s2, 0
	s_add_i32 s24, s24, 1
	s_cmp_lt_i32 s24, s25
	s_cbranch_scc0 .LBB47_9
.LBB47_6:                               ; =>This Loop Header: Depth=1
                                        ;     Child Loop BB47_8 Depth 2
	s_and_saveexec_b64 s[4:5], vcc
	s_cbranch_execz .LBB47_5
; %bb.7:                                ;   in Loop: Header=BB47_6 Depth=1
	s_ashr_i32 s3, s2, 31
	s_lshl_b64 s[0:1], s[2:3], 2
	s_add_u32 s0, s26, s0
	s_addc_u32 s1, s27, s1
	s_load_dword s0, s[0:1], 0x0
	v_mov_b32_e32 v2, v0
	s_load_dword s22, s[16:17], 0xc
	s_waitcnt lgkmcnt(0)
	s_ashr_i32 s1, s0, 31
	s_mul_hi_u32 s3, s6, s0
	s_mul_i32 s1, s6, s1
	s_mul_i32 s14, s7, s0
	s_add_i32 s1, s3, s1
	s_mul_i32 s0, s6, s0
	s_add_i32 s1, s1, s14
	s_lshl_b64 s[0:1], s[0:1], 1
	s_add_u32 s3, s12, s0
	s_addc_u32 s21, s13, s1
	s_ashr_i32 s0, s24, 31
	s_mul_hi_u32 s1, s10, s24
	s_mul_i32 s0, s10, s0
	s_add_i32 s0, s1, s0
	s_mul_i32 s1, s11, s24
	s_add_i32 s1, s0, s1
	s_mul_i32 s0, s10, s24
	s_lshl_b64 s[0:1], s[0:1], 1
	s_add_u32 s14, s28, s0
	s_addc_u32 s15, s29, s1
	s_ashr_i32 s0, s30, 31
	s_mul_hi_u32 s1, s8, s30
	s_mul_i32 s0, s8, s0
	s_add_i32 s0, s1, s0
	s_mul_i32 s1, s9, s30
	s_add_i32 s1, s0, s1
	s_mul_i32 s0, s8, s30
	s_lshl_b64 s[0:1], s[0:1], 1
	s_add_u32 s20, s3, s0
	s_addc_u32 s21, s21, s1
	s_and_b32 s3, s22, 0xffff
	s_mov_b64 s[22:23], 0
.LBB47_8:                               ;   Parent Loop BB47_6 Depth=1
                                        ; =>  This Inner Loop Header: Depth=2
	v_ashrrev_i32_e32 v3, 31, v2
	v_lshlrev_b64 v[4:5], 1, v[2:3]
	v_lshl_add_u64 v[6:7], s[20:21], 0, v[4:5]
	global_load_ushort v1, v[6:7], off
	v_add_u32_e32 v2, s3, v2
	v_cmp_le_i32_e64 s[0:1], s19, v2
	v_lshl_add_u64 v[4:5], s[14:15], 0, v[4:5]
	s_or_b64 s[22:23], s[0:1], s[22:23]
	s_waitcnt vmcnt(0)
	global_store_short v[4:5], v1, off
	s_andn2_b64 exec, exec, s[22:23]
	s_cbranch_execnz .LBB47_8
	s_branch .LBB47_5
.LBB47_9:
	s_endpgm
	.section	.rodata,"a",@progbits
	.p2align	6, 0x0
	.amdhsa_kernel _ZN4vllm15cp_gather_cacheItEEvPKT_PS1_PKiS6_iillllS6_
		.amdhsa_group_segment_fixed_size 0
		.amdhsa_private_segment_fixed_size 0
		.amdhsa_kernarg_size 336
		.amdhsa_user_sgpr_count 2
		.amdhsa_user_sgpr_dispatch_ptr 0
		.amdhsa_user_sgpr_queue_ptr 0
		.amdhsa_user_sgpr_kernarg_segment_ptr 1
		.amdhsa_user_sgpr_dispatch_id 0
		.amdhsa_user_sgpr_kernarg_preload_length 0
		.amdhsa_user_sgpr_kernarg_preload_offset 0
		.amdhsa_user_sgpr_private_segment_size 0
		.amdhsa_uses_dynamic_stack 0
		.amdhsa_enable_private_segment 0
		.amdhsa_system_sgpr_workgroup_id_x 1
		.amdhsa_system_sgpr_workgroup_id_y 1
		.amdhsa_system_sgpr_workgroup_id_z 0
		.amdhsa_system_sgpr_workgroup_info 0
		.amdhsa_system_vgpr_workitem_id 0
		.amdhsa_next_free_vgpr 8
		.amdhsa_next_free_sgpr 31
		.amdhsa_accum_offset 8
		.amdhsa_reserve_vcc 1
		.amdhsa_float_round_mode_32 0
		.amdhsa_float_round_mode_16_64 0
		.amdhsa_float_denorm_mode_32 3
		.amdhsa_float_denorm_mode_16_64 3
		.amdhsa_dx10_clamp 1
		.amdhsa_ieee_mode 1
		.amdhsa_fp16_overflow 0
		.amdhsa_tg_split 0
		.amdhsa_exception_fp_ieee_invalid_op 0
		.amdhsa_exception_fp_denorm_src 0
		.amdhsa_exception_fp_ieee_div_zero 0
		.amdhsa_exception_fp_ieee_overflow 0
		.amdhsa_exception_fp_ieee_underflow 0
		.amdhsa_exception_fp_ieee_inexact 0
		.amdhsa_exception_int_div_zero 0
	.end_amdhsa_kernel
	.section	.text._ZN4vllm15cp_gather_cacheItEEvPKT_PS1_PKiS6_iillllS6_,"axG",@progbits,_ZN4vllm15cp_gather_cacheItEEvPKT_PS1_PKiS6_iillllS6_,comdat
.Lfunc_end47:
	.size	_ZN4vllm15cp_gather_cacheItEEvPKT_PS1_PKiS6_iillllS6_, .Lfunc_end47-_ZN4vllm15cp_gather_cacheItEEvPKT_PS1_PKiS6_iillllS6_
                                        ; -- End function
	.set _ZN4vllm15cp_gather_cacheItEEvPKT_PS1_PKiS6_iillllS6_.num_vgpr, 8
	.set _ZN4vllm15cp_gather_cacheItEEvPKT_PS1_PKiS6_iillllS6_.num_agpr, 0
	.set _ZN4vllm15cp_gather_cacheItEEvPKT_PS1_PKiS6_iillllS6_.numbered_sgpr, 31
	.set _ZN4vllm15cp_gather_cacheItEEvPKT_PS1_PKiS6_iillllS6_.num_named_barrier, 0
	.set _ZN4vllm15cp_gather_cacheItEEvPKT_PS1_PKiS6_iillllS6_.private_seg_size, 0
	.set _ZN4vllm15cp_gather_cacheItEEvPKT_PS1_PKiS6_iillllS6_.uses_vcc, 1
	.set _ZN4vllm15cp_gather_cacheItEEvPKT_PS1_PKiS6_iillllS6_.uses_flat_scratch, 0
	.set _ZN4vllm15cp_gather_cacheItEEvPKT_PS1_PKiS6_iillllS6_.has_dyn_sized_stack, 0
	.set _ZN4vllm15cp_gather_cacheItEEvPKT_PS1_PKiS6_iillllS6_.has_recursion, 0
	.set _ZN4vllm15cp_gather_cacheItEEvPKT_PS1_PKiS6_iillllS6_.has_indirect_call, 0
	.section	.AMDGPU.csdata,"",@progbits
; Kernel info:
; codeLenInByte = 788
; TotalNumSgprs: 37
; NumVgprs: 8
; NumAgprs: 0
; TotalNumVgprs: 8
; ScratchSize: 0
; MemoryBound: 0
; FloatMode: 240
; IeeeMode: 1
; LDSByteSize: 0 bytes/workgroup (compile time only)
; SGPRBlocks: 4
; VGPRBlocks: 0
; NumSGPRsForWavesPerEU: 37
; NumVGPRsForWavesPerEU: 8
; AccumOffset: 8
; Occupancy: 8
; WaveLimiterHint : 1
; COMPUTE_PGM_RSRC2:SCRATCH_EN: 0
; COMPUTE_PGM_RSRC2:USER_SGPR: 2
; COMPUTE_PGM_RSRC2:TRAP_HANDLER: 0
; COMPUTE_PGM_RSRC2:TGID_X_EN: 1
; COMPUTE_PGM_RSRC2:TGID_Y_EN: 1
; COMPUTE_PGM_RSRC2:TGID_Z_EN: 0
; COMPUTE_PGM_RSRC2:TIDIG_COMP_CNT: 0
; COMPUTE_PGM_RSRC3_GFX90A:ACCUM_OFFSET: 1
; COMPUTE_PGM_RSRC3_GFX90A:TG_SPLIT: 0
	.section	.text._ZN4vllm15cp_gather_cacheIhEEvPKT_PS1_PKiS6_iillllS6_,"axG",@progbits,_ZN4vllm15cp_gather_cacheIhEEvPKT_PS1_PKiS6_iillllS6_,comdat
	.protected	_ZN4vllm15cp_gather_cacheIhEEvPKT_PS1_PKiS6_iillllS6_ ; -- Begin function _ZN4vllm15cp_gather_cacheIhEEvPKT_PS1_PKiS6_iillllS6_
	.globl	_ZN4vllm15cp_gather_cacheIhEEvPKT_PS1_PKiS6_iillllS6_
	.p2align	8
	.type	_ZN4vllm15cp_gather_cacheIhEEvPKT_PS1_PKiS6_iillllS6_,@function
_ZN4vllm15cp_gather_cacheIhEEvPKT_PS1_PKiS6_iillllS6_: ; @_ZN4vllm15cp_gather_cacheIhEEvPKT_PS1_PKiS6_iillllS6_
; %bb.0:
	s_load_dwordx2 s[8:9], s[0:1], 0x18
	s_load_dword s5, s[0:1], 0x54
	s_mov_b32 s4, s3
	s_mov_b32 s3, 0
	s_add_u32 s16, s0, 0x50
	s_addc_u32 s17, s1, 0
	s_lshl_b64 s[6:7], s[2:3], 2
	s_waitcnt lgkmcnt(0)
	s_add_u32 s8, s8, s6
	s_addc_u32 s9, s9, s7
	s_abs_i32 s3, s5
	v_cvt_f32_u32_e32 v1, s3
	s_load_dwordx2 s[20:21], s[8:9], 0x0
	s_sub_i32 s10, 0, s3
	v_rcp_iflag_f32_e32 v1, v1
	s_waitcnt lgkmcnt(0)
	s_sub_i32 s8, s21, s20
	s_add_i32 s9, s5, s8
	v_mul_f32_e32 v1, 0x4f7ffffe, v1
	v_cvt_u32_f32_e32 v1, v1
	s_add_i32 s9, s9, -1
	s_xor_b32 s5, s9, s5
	s_abs_i32 s9, s9
	v_readfirstlane_b32 s11, v1
	s_mul_i32 s10, s10, s11
	s_mul_hi_u32 s10, s11, s10
	s_add_i32 s11, s11, s10
	s_mul_hi_u32 s10, s9, s11
	s_mul_i32 s11, s10, s3
	s_sub_i32 s9, s9, s11
	s_ashr_i32 s5, s5, 31
	s_add_i32 s11, s10, 1
	s_sub_i32 s12, s9, s3
	s_cmp_ge_u32 s9, s3
	s_cselect_b32 s10, s11, s10
	s_cselect_b32 s9, s12, s9
	s_add_i32 s11, s10, 1
	s_cmp_ge_u32 s9, s3
	s_cselect_b32 s3, s11, s10
	s_xor_b32 s3, s3, s5
	s_sub_i32 s9, s3, s5
	s_mul_i32 s24, s9, s4
	s_cmp_ge_i32 s24, s8
	s_cbranch_scc1 .LBB48_9
; %bb.1:
	s_load_dwordx2 s[4:5], s[0:1], 0x48
	s_mov_b32 s3, s24
	s_waitcnt lgkmcnt(0)
	s_cmp_eq_u64 s[4:5], 0
	s_cbranch_scc1 .LBB48_3
; %bb.2:
	s_add_u32 s4, s4, s6
	s_addc_u32 s5, s5, s7
	s_load_dword s3, s[4:5], 0x0
	s_waitcnt lgkmcnt(0)
	s_add_i32 s3, s3, s24
.LBB48_3:
	s_add_i32 s4, s24, s9
	s_min_i32 s25, s4, s8
	s_cmp_ge_i32 s24, s25
	s_cbranch_scc1 .LBB48_9
; %bb.4:
	s_load_dwordx8 s[4:11], s[0:1], 0x28
	s_load_dwordx4 s[12:15], s[0:1], 0x0
	s_load_dwordx2 s[22:23], s[0:1], 0x10
	s_load_dwordx2 s[18:19], s[0:1], 0x20
	s_waitcnt lgkmcnt(0)
	s_mul_i32 s0, s2, s4
	s_ashr_i32 s1, s0, 31
	s_lshl_b64 s[0:1], s[0:1], 2
	s_add_u32 s26, s22, s0
	s_addc_u32 s27, s23, s1
	s_ashr_i32 s0, s20, 31
	s_mul_hi_u32 s1, s10, s20
	s_mul_i32 s0, s10, s0
	s_add_i32 s0, s1, s0
	s_mul_i32 s1, s11, s20
	s_add_i32 s0, s0, s1
	s_mul_i32 s1, s10, s20
	s_add_u32 s28, s14, s1
	s_addc_u32 s29, s15, s0
	s_abs_i32 s0, s18
	v_cvt_f32_u32_e32 v1, s0
	s_sub_i32 s4, 0, s0
	s_abs_i32 s2, s3
	s_xor_b32 s1, s3, s18
	v_rcp_iflag_f32_e32 v1, v1
	s_ashr_i32 s1, s1, 31
	v_cmp_gt_i32_e32 vcc, s19, v0
	v_mul_f32_e32 v1, 0x4f7ffffe, v1
	v_cvt_u32_f32_e32 v1, v1
	s_nop 0
	v_readfirstlane_b32 s5, v1
	s_mul_i32 s4, s4, s5
	s_mul_hi_u32 s4, s5, s4
	s_add_i32 s5, s5, s4
	s_mul_hi_u32 s4, s2, s5
	s_mul_i32 s5, s4, s0
	s_sub_i32 s2, s2, s5
	s_add_i32 s14, s4, 1
	s_sub_i32 s5, s2, s0
	s_cmp_ge_u32 s2, s0
	s_cselect_b32 s4, s14, s4
	s_cselect_b32 s2, s5, s2
	s_add_i32 s5, s4, 1
	s_cmp_ge_u32 s2, s0
	s_cselect_b32 s0, s5, s4
	s_xor_b32 s0, s0, s1
	s_sub_i32 s2, s0, s1
	s_mul_i32 s0, s2, s18
	s_sub_i32 s30, s3, s0
	s_branch .LBB48_6
.LBB48_5:                               ;   in Loop: Header=BB48_6 Depth=1
	s_or_b64 exec, exec, s[4:5]
	s_add_i32 s3, s30, 1
	s_cmp_eq_u32 s3, s18
	s_cselect_b64 s[0:1], -1, 0
	s_and_b64 s[4:5], s[0:1], exec
	s_cselect_b32 s30, 0, s3
	s_cmp_lg_u64 s[0:1], 0
	s_addc_u32 s2, s2, 0
	s_add_i32 s24, s24, 1
	s_cmp_lt_i32 s24, s25
	s_cbranch_scc0 .LBB48_9
.LBB48_6:                               ; =>This Loop Header: Depth=1
                                        ;     Child Loop BB48_8 Depth 2
	s_and_saveexec_b64 s[4:5], vcc
	s_cbranch_execz .LBB48_5
; %bb.7:                                ;   in Loop: Header=BB48_6 Depth=1
	s_ashr_i32 s3, s2, 31
	s_lshl_b64 s[0:1], s[2:3], 2
	s_add_u32 s0, s26, s0
	s_addc_u32 s1, s27, s1
	s_load_dword s0, s[0:1], 0x0
	s_mul_hi_u32 s20, s8, s30
	s_load_dword s22, s[16:17], 0xc
	v_mov_b32_e32 v2, v0
	s_waitcnt lgkmcnt(0)
	s_ashr_i32 s1, s0, 31
	s_mul_hi_u32 s3, s6, s0
	s_mul_i32 s1, s6, s1
	s_mul_i32 s14, s7, s0
	s_add_i32 s1, s3, s1
	s_mul_i32 s0, s6, s0
	s_add_i32 s1, s1, s14
	s_add_u32 s0, s12, s0
	s_addc_u32 s1, s13, s1
	s_ashr_i32 s3, s24, 31
	s_mul_hi_u32 s14, s10, s24
	s_mul_i32 s3, s10, s3
	s_add_i32 s3, s14, s3
	s_mul_i32 s14, s11, s24
	s_add_i32 s3, s3, s14
	s_mul_i32 s14, s10, s24
	s_add_u32 s14, s28, s14
	s_addc_u32 s15, s29, s3
	s_ashr_i32 s3, s30, 31
	s_mul_i32 s3, s8, s3
	s_add_i32 s3, s20, s3
	s_mul_i32 s20, s9, s30
	s_add_i32 s3, s3, s20
	s_mul_i32 s20, s8, s30
	s_add_u32 s20, s0, s20
	s_addc_u32 s21, s1, s3
	s_and_b32 s3, s22, 0xffff
	s_mov_b64 s[22:23], 0
.LBB48_8:                               ;   Parent Loop BB48_6 Depth=1
                                        ; =>  This Inner Loop Header: Depth=2
	v_ashrrev_i32_e32 v3, 31, v2
	v_lshl_add_u64 v[4:5], s[20:21], 0, v[2:3]
	global_load_ubyte v1, v[4:5], off
	v_lshl_add_u64 v[4:5], s[14:15], 0, v[2:3]
	v_add_u32_e32 v2, s3, v2
	v_cmp_le_i32_e64 s[0:1], s19, v2
	s_or_b64 s[22:23], s[0:1], s[22:23]
	s_waitcnt vmcnt(0)
	global_store_byte v[4:5], v1, off
	s_andn2_b64 exec, exec, s[22:23]
	s_cbranch_execnz .LBB48_8
	s_branch .LBB48_5
.LBB48_9:
	s_endpgm
	.section	.rodata,"a",@progbits
	.p2align	6, 0x0
	.amdhsa_kernel _ZN4vllm15cp_gather_cacheIhEEvPKT_PS1_PKiS6_iillllS6_
		.amdhsa_group_segment_fixed_size 0
		.amdhsa_private_segment_fixed_size 0
		.amdhsa_kernarg_size 336
		.amdhsa_user_sgpr_count 2
		.amdhsa_user_sgpr_dispatch_ptr 0
		.amdhsa_user_sgpr_queue_ptr 0
		.amdhsa_user_sgpr_kernarg_segment_ptr 1
		.amdhsa_user_sgpr_dispatch_id 0
		.amdhsa_user_sgpr_kernarg_preload_length 0
		.amdhsa_user_sgpr_kernarg_preload_offset 0
		.amdhsa_user_sgpr_private_segment_size 0
		.amdhsa_uses_dynamic_stack 0
		.amdhsa_enable_private_segment 0
		.amdhsa_system_sgpr_workgroup_id_x 1
		.amdhsa_system_sgpr_workgroup_id_y 1
		.amdhsa_system_sgpr_workgroup_id_z 0
		.amdhsa_system_sgpr_workgroup_info 0
		.amdhsa_system_vgpr_workitem_id 0
		.amdhsa_next_free_vgpr 6
		.amdhsa_next_free_sgpr 31
		.amdhsa_accum_offset 8
		.amdhsa_reserve_vcc 1
		.amdhsa_float_round_mode_32 0
		.amdhsa_float_round_mode_16_64 0
		.amdhsa_float_denorm_mode_32 3
		.amdhsa_float_denorm_mode_16_64 3
		.amdhsa_dx10_clamp 1
		.amdhsa_ieee_mode 1
		.amdhsa_fp16_overflow 0
		.amdhsa_tg_split 0
		.amdhsa_exception_fp_ieee_invalid_op 0
		.amdhsa_exception_fp_denorm_src 0
		.amdhsa_exception_fp_ieee_div_zero 0
		.amdhsa_exception_fp_ieee_overflow 0
		.amdhsa_exception_fp_ieee_underflow 0
		.amdhsa_exception_fp_ieee_inexact 0
		.amdhsa_exception_int_div_zero 0
	.end_amdhsa_kernel
	.section	.text._ZN4vllm15cp_gather_cacheIhEEvPKT_PS1_PKiS6_iillllS6_,"axG",@progbits,_ZN4vllm15cp_gather_cacheIhEEvPKT_PS1_PKiS6_iillllS6_,comdat
.Lfunc_end48:
	.size	_ZN4vllm15cp_gather_cacheIhEEvPKT_PS1_PKiS6_iillllS6_, .Lfunc_end48-_ZN4vllm15cp_gather_cacheIhEEvPKT_PS1_PKiS6_iillllS6_
                                        ; -- End function
	.set _ZN4vllm15cp_gather_cacheIhEEvPKT_PS1_PKiS6_iillllS6_.num_vgpr, 6
	.set _ZN4vllm15cp_gather_cacheIhEEvPKT_PS1_PKiS6_iillllS6_.num_agpr, 0
	.set _ZN4vllm15cp_gather_cacheIhEEvPKT_PS1_PKiS6_iillllS6_.numbered_sgpr, 31
	.set _ZN4vllm15cp_gather_cacheIhEEvPKT_PS1_PKiS6_iillllS6_.num_named_barrier, 0
	.set _ZN4vllm15cp_gather_cacheIhEEvPKT_PS1_PKiS6_iillllS6_.private_seg_size, 0
	.set _ZN4vllm15cp_gather_cacheIhEEvPKT_PS1_PKiS6_iillllS6_.uses_vcc, 1
	.set _ZN4vllm15cp_gather_cacheIhEEvPKT_PS1_PKiS6_iillllS6_.uses_flat_scratch, 0
	.set _ZN4vllm15cp_gather_cacheIhEEvPKT_PS1_PKiS6_iillllS6_.has_dyn_sized_stack, 0
	.set _ZN4vllm15cp_gather_cacheIhEEvPKT_PS1_PKiS6_iillllS6_.has_recursion, 0
	.set _ZN4vllm15cp_gather_cacheIhEEvPKT_PS1_PKiS6_iillllS6_.has_indirect_call, 0
	.section	.AMDGPU.csdata,"",@progbits
; Kernel info:
; codeLenInByte = 764
; TotalNumSgprs: 37
; NumVgprs: 6
; NumAgprs: 0
; TotalNumVgprs: 6
; ScratchSize: 0
; MemoryBound: 0
; FloatMode: 240
; IeeeMode: 1
; LDSByteSize: 0 bytes/workgroup (compile time only)
; SGPRBlocks: 4
; VGPRBlocks: 0
; NumSGPRsForWavesPerEU: 37
; NumVGPRsForWavesPerEU: 6
; AccumOffset: 8
; Occupancy: 8
; WaveLimiterHint : 1
; COMPUTE_PGM_RSRC2:SCRATCH_EN: 0
; COMPUTE_PGM_RSRC2:USER_SGPR: 2
; COMPUTE_PGM_RSRC2:TRAP_HANDLER: 0
; COMPUTE_PGM_RSRC2:TGID_X_EN: 1
; COMPUTE_PGM_RSRC2:TGID_Y_EN: 1
; COMPUTE_PGM_RSRC2:TGID_Z_EN: 0
; COMPUTE_PGM_RSRC2:TIDIG_COMP_CNT: 0
; COMPUTE_PGM_RSRC3_GFX90A:ACCUM_OFFSET: 1
; COMPUTE_PGM_RSRC3_GFX90A:TG_SPLIT: 0
	.text
	.p2alignl 6, 3212836864
	.fill 256, 4, 3212836864
	.section	.AMDGPU.gpr_maximums,"",@progbits
	.set amdgpu.max_num_vgpr, 41
	.set amdgpu.max_num_agpr, 0
	.set amdgpu.max_num_sgpr, 34
	.text
	.type	__const.__assert_fail.fmt,@object ; @__const.__assert_fail.fmt
	.section	.rodata.str1.16,"aMS",@progbits,1
	.p2align	4, 0x0
__const.__assert_fail.fmt:
	.asciz	"%s:%u: %s: Device-side assertion `%s' failed.\n"
	.size	__const.__assert_fail.fmt, 47

	.type	.str,@object                    ; @.str
	.section	.rodata.str1.1,"aMS",@progbits,1
.str:
	.asciz	"false"
	.size	.str, 6

	.type	.str.1,@object                  ; @.str.1
.str.1:
	.asciz	"/root/src/amdgpu-assembly/repos/ROCm__vllm/csrc/quantization/fp8/amd/quant_utils_hip.cuh"
	.size	.str.1, 89

	.type	__PRETTY_FUNCTION__._ZN4vllm3fp814scaled_convertIhfLNS_18Fp8KVCacheDataTypeE0EEET_RKT0_f,@object ; @__PRETTY_FUNCTION__._ZN4vllm3fp814scaled_convertIhfLNS_18Fp8KVCacheDataTypeE0EEET_RKT0_f
__PRETTY_FUNCTION__._ZN4vllm3fp814scaled_convertIhfLNS_18Fp8KVCacheDataTypeE0EEET_RKT0_f:
	.asciz	"Tout vllm::fp8::scaled_convert(const Tin &, const float) [Tout = unsigned char, Tin = float, kv_dt = vllm::Fp8KVCacheDataType::kAuto]"
	.size	__PRETTY_FUNCTION__._ZN4vllm3fp814scaled_convertIhfLNS_18Fp8KVCacheDataTypeE0EEET_RKT0_f, 134

	.type	__PRETTY_FUNCTION__._ZN4vllm3fp814scaled_convertIhtLNS_18Fp8KVCacheDataTypeE0EEET_RKT0_f,@object ; @__PRETTY_FUNCTION__._ZN4vllm3fp814scaled_convertIhtLNS_18Fp8KVCacheDataTypeE0EEET_RKT0_f
__PRETTY_FUNCTION__._ZN4vllm3fp814scaled_convertIhtLNS_18Fp8KVCacheDataTypeE0EEET_RKT0_f:
	.asciz	"Tout vllm::fp8::scaled_convert(const Tin &, const float) [Tout = unsigned char, Tin = unsigned short, kv_dt = vllm::Fp8KVCacheDataType::kAuto]"
	.size	__PRETTY_FUNCTION__._ZN4vllm3fp814scaled_convertIhtLNS_18Fp8KVCacheDataTypeE0EEET_RKT0_f, 143

	.type	__PRETTY_FUNCTION__._ZN4vllm3fp814scaled_convertIh14__hip_bfloat16LNS_18Fp8KVCacheDataTypeE0EEET_RKT0_f,@object ; @__PRETTY_FUNCTION__._ZN4vllm3fp814scaled_convertIh14__hip_bfloat16LNS_18Fp8KVCacheDataTypeE0EEET_RKT0_f
__PRETTY_FUNCTION__._ZN4vllm3fp814scaled_convertIh14__hip_bfloat16LNS_18Fp8KVCacheDataTypeE0EEET_RKT0_f:
	.asciz	"Tout vllm::fp8::scaled_convert(const Tin &, const float) [Tout = unsigned char, Tin = __hip_bfloat16, kv_dt = vllm::Fp8KVCacheDataType::kAuto]"
	.size	__PRETTY_FUNCTION__._ZN4vllm3fp814scaled_convertIh14__hip_bfloat16LNS_18Fp8KVCacheDataTypeE0EEET_RKT0_f, 143

	.type	__PRETTY_FUNCTION__._ZN4vllm3fp814scaled_convertIfhLNS_18Fp8KVCacheDataTypeE0EEET_RKT0_f,@object ; @__PRETTY_FUNCTION__._ZN4vllm3fp814scaled_convertIfhLNS_18Fp8KVCacheDataTypeE0EEET_RKT0_f
__PRETTY_FUNCTION__._ZN4vllm3fp814scaled_convertIfhLNS_18Fp8KVCacheDataTypeE0EEET_RKT0_f:
	.asciz	"Tout vllm::fp8::scaled_convert(const Tin &, const float) [Tout = float, Tin = unsigned char, kv_dt = vllm::Fp8KVCacheDataType::kAuto]"
	.size	__PRETTY_FUNCTION__._ZN4vllm3fp814scaled_convertIfhLNS_18Fp8KVCacheDataTypeE0EEET_RKT0_f, 134

	.type	__PRETTY_FUNCTION__._ZN4vllm3fp814scaled_convertIthLNS_18Fp8KVCacheDataTypeE0EEET_RKT0_f,@object ; @__PRETTY_FUNCTION__._ZN4vllm3fp814scaled_convertIthLNS_18Fp8KVCacheDataTypeE0EEET_RKT0_f
__PRETTY_FUNCTION__._ZN4vllm3fp814scaled_convertIthLNS_18Fp8KVCacheDataTypeE0EEET_RKT0_f:
	.asciz	"Tout vllm::fp8::scaled_convert(const Tin &, const float) [Tout = unsigned short, Tin = unsigned char, kv_dt = vllm::Fp8KVCacheDataType::kAuto]"
	.size	__PRETTY_FUNCTION__._ZN4vllm3fp814scaled_convertIthLNS_18Fp8KVCacheDataTypeE0EEET_RKT0_f, 143

	.type	__PRETTY_FUNCTION__._ZN4vllm3fp814scaled_convertI14__hip_bfloat16hLNS_18Fp8KVCacheDataTypeE0EEET_RKT0_f,@object ; @__PRETTY_FUNCTION__._ZN4vllm3fp814scaled_convertI14__hip_bfloat16hLNS_18Fp8KVCacheDataTypeE0EEET_RKT0_f
__PRETTY_FUNCTION__._ZN4vllm3fp814scaled_convertI14__hip_bfloat16hLNS_18Fp8KVCacheDataTypeE0EEET_RKT0_f:
	.asciz	"Tout vllm::fp8::scaled_convert(const Tin &, const float) [Tout = __hip_bfloat16, Tin = unsigned char, kv_dt = vllm::Fp8KVCacheDataType::kAuto]"
	.size	__PRETTY_FUNCTION__._ZN4vllm3fp814scaled_convertI14__hip_bfloat16hLNS_18Fp8KVCacheDataTypeE0EEET_RKT0_f, 143

	.type	__hip_cuid_7715790436c15242,@object ; @__hip_cuid_7715790436c15242
	.section	.bss,"aw",@nobits
	.globl	__hip_cuid_7715790436c15242
__hip_cuid_7715790436c15242:
	.byte	0                               ; 0x0
	.size	__hip_cuid_7715790436c15242, 1

	.ident	"AMD clang version 22.0.0git (https://github.com/RadeonOpenCompute/llvm-project roc-7.2.4 26084 f58b06dce1f9c15707c5f808fd002e18c2accf7e)"
	.section	".note.GNU-stack","",@progbits
	.addrsig
	.addrsig_sym __hip_cuid_7715790436c15242
	.amdgpu_metadata
---
amdhsa.kernels:
  - .agpr_count:     0
    .args:
      - .address_space:  global
        .offset:         0
        .size:           8
        .value_kind:     global_buffer
      - .address_space:  global
        .offset:         8
        .size:           8
        .value_kind:     global_buffer
      - .actual_access:  read_only
        .address_space:  global
        .offset:         16
        .size:           8
        .value_kind:     global_buffer
      - .offset:         24
        .size:           4
        .value_kind:     by_value
      - .offset:         32
        .size:           4
        .value_kind:     hidden_block_count_x
      - .offset:         36
        .size:           4
        .value_kind:     hidden_block_count_y
      - .offset:         40
        .size:           4
        .value_kind:     hidden_block_count_z
      - .offset:         44
        .size:           2
        .value_kind:     hidden_group_size_x
      - .offset:         46
        .size:           2
        .value_kind:     hidden_group_size_y
      - .offset:         48
        .size:           2
        .value_kind:     hidden_group_size_z
      - .offset:         50
        .size:           2
        .value_kind:     hidden_remainder_x
      - .offset:         52
        .size:           2
        .value_kind:     hidden_remainder_y
      - .offset:         54
        .size:           2
        .value_kind:     hidden_remainder_z
      - .offset:         72
        .size:           8
        .value_kind:     hidden_global_offset_x
      - .offset:         80
        .size:           8
        .value_kind:     hidden_global_offset_y
      - .offset:         88
        .size:           8
        .value_kind:     hidden_global_offset_z
      - .offset:         96
        .size:           2
        .value_kind:     hidden_grid_dims
    .group_segment_fixed_size: 0
    .kernarg_segment_align: 8
    .kernarg_segment_size: 288
    .language:       OpenCL C
    .language_version:
      - 2
      - 0
    .max_flat_workgroup_size: 1024
    .name:           _ZN4vllm18copy_blocks_kernelIfEEvPlS1_PKli
    .private_segment_fixed_size: 0
    .sgpr_count:     24
    .sgpr_spill_count: 0
    .symbol:         _ZN4vllm18copy_blocks_kernelIfEEvPlS1_PKli.kd
    .uniform_work_group_size: 1
    .uses_dynamic_stack: false
    .vgpr_count:     8
    .vgpr_spill_count: 0
    .wavefront_size: 64
  - .agpr_count:     0
    .args:
      - .address_space:  global
        .offset:         0
        .size:           8
        .value_kind:     global_buffer
      - .address_space:  global
        .offset:         8
        .size:           8
        .value_kind:     global_buffer
      - .actual_access:  read_only
        .address_space:  global
        .offset:         16
        .size:           8
        .value_kind:     global_buffer
      - .offset:         24
        .size:           4
        .value_kind:     by_value
      - .offset:         32
        .size:           4
        .value_kind:     hidden_block_count_x
      - .offset:         36
        .size:           4
        .value_kind:     hidden_block_count_y
      - .offset:         40
        .size:           4
        .value_kind:     hidden_block_count_z
      - .offset:         44
        .size:           2
        .value_kind:     hidden_group_size_x
      - .offset:         46
        .size:           2
        .value_kind:     hidden_group_size_y
      - .offset:         48
        .size:           2
        .value_kind:     hidden_group_size_z
      - .offset:         50
        .size:           2
        .value_kind:     hidden_remainder_x
      - .offset:         52
        .size:           2
        .value_kind:     hidden_remainder_y
      - .offset:         54
        .size:           2
        .value_kind:     hidden_remainder_z
      - .offset:         72
        .size:           8
        .value_kind:     hidden_global_offset_x
      - .offset:         80
        .size:           8
        .value_kind:     hidden_global_offset_y
      - .offset:         88
        .size:           8
        .value_kind:     hidden_global_offset_z
      - .offset:         96
        .size:           2
        .value_kind:     hidden_grid_dims
    .group_segment_fixed_size: 0
    .kernarg_segment_align: 8
    .kernarg_segment_size: 288
    .language:       OpenCL C
    .language_version:
      - 2
      - 0
    .max_flat_workgroup_size: 1024
    .name:           _ZN4vllm18copy_blocks_kernelIN3c104HalfEEEvPlS3_PKli
    .private_segment_fixed_size: 0
    .sgpr_count:     24
    .sgpr_spill_count: 0
    .symbol:         _ZN4vllm18copy_blocks_kernelIN3c104HalfEEEvPlS3_PKli.kd
    .uniform_work_group_size: 1
    .uses_dynamic_stack: false
    .vgpr_count:     8
    .vgpr_spill_count: 0
    .wavefront_size: 64
  - .agpr_count:     0
    .args:
      - .address_space:  global
        .offset:         0
        .size:           8
        .value_kind:     global_buffer
      - .address_space:  global
        .offset:         8
        .size:           8
        .value_kind:     global_buffer
      - .actual_access:  read_only
        .address_space:  global
        .offset:         16
        .size:           8
        .value_kind:     global_buffer
      - .offset:         24
        .size:           4
        .value_kind:     by_value
      - .offset:         32
        .size:           4
        .value_kind:     hidden_block_count_x
      - .offset:         36
        .size:           4
        .value_kind:     hidden_block_count_y
      - .offset:         40
        .size:           4
        .value_kind:     hidden_block_count_z
      - .offset:         44
        .size:           2
        .value_kind:     hidden_group_size_x
      - .offset:         46
        .size:           2
        .value_kind:     hidden_group_size_y
      - .offset:         48
        .size:           2
        .value_kind:     hidden_group_size_z
      - .offset:         50
        .size:           2
        .value_kind:     hidden_remainder_x
      - .offset:         52
        .size:           2
        .value_kind:     hidden_remainder_y
      - .offset:         54
        .size:           2
        .value_kind:     hidden_remainder_z
      - .offset:         72
        .size:           8
        .value_kind:     hidden_global_offset_x
      - .offset:         80
        .size:           8
        .value_kind:     hidden_global_offset_y
      - .offset:         88
        .size:           8
        .value_kind:     hidden_global_offset_z
      - .offset:         96
        .size:           2
        .value_kind:     hidden_grid_dims
    .group_segment_fixed_size: 0
    .kernarg_segment_align: 8
    .kernarg_segment_size: 288
    .language:       OpenCL C
    .language_version:
      - 2
      - 0
    .max_flat_workgroup_size: 1024
    .name:           _ZN4vllm18copy_blocks_kernelIN3c108BFloat16EEEvPlS3_PKli
    .private_segment_fixed_size: 0
    .sgpr_count:     24
    .sgpr_spill_count: 0
    .symbol:         _ZN4vllm18copy_blocks_kernelIN3c108BFloat16EEEvPlS3_PKli.kd
    .uniform_work_group_size: 1
    .uses_dynamic_stack: false
    .vgpr_count:     8
    .vgpr_spill_count: 0
    .wavefront_size: 64
  - .agpr_count:     0
    .args:
      - .address_space:  global
        .offset:         0
        .size:           8
        .value_kind:     global_buffer
      - .address_space:  global
        .offset:         8
        .size:           8
        .value_kind:     global_buffer
      - .actual_access:  read_only
        .address_space:  global
        .offset:         16
        .size:           8
        .value_kind:     global_buffer
      - .offset:         24
        .size:           4
        .value_kind:     by_value
      - .offset:         32
        .size:           4
        .value_kind:     hidden_block_count_x
      - .offset:         36
        .size:           4
        .value_kind:     hidden_block_count_y
      - .offset:         40
        .size:           4
        .value_kind:     hidden_block_count_z
      - .offset:         44
        .size:           2
        .value_kind:     hidden_group_size_x
      - .offset:         46
        .size:           2
        .value_kind:     hidden_group_size_y
      - .offset:         48
        .size:           2
        .value_kind:     hidden_group_size_z
      - .offset:         50
        .size:           2
        .value_kind:     hidden_remainder_x
      - .offset:         52
        .size:           2
        .value_kind:     hidden_remainder_y
      - .offset:         54
        .size:           2
        .value_kind:     hidden_remainder_z
      - .offset:         72
        .size:           8
        .value_kind:     hidden_global_offset_x
      - .offset:         80
        .size:           8
        .value_kind:     hidden_global_offset_y
      - .offset:         88
        .size:           8
        .value_kind:     hidden_global_offset_z
      - .offset:         96
        .size:           2
        .value_kind:     hidden_grid_dims
    .group_segment_fixed_size: 0
    .kernarg_segment_align: 8
    .kernarg_segment_size: 288
    .language:       OpenCL C
    .language_version:
      - 2
      - 0
    .max_flat_workgroup_size: 1024
    .name:           _ZN4vllm18copy_blocks_kernelIhEEvPlS1_PKli
    .private_segment_fixed_size: 0
    .sgpr_count:     24
    .sgpr_spill_count: 0
    .symbol:         _ZN4vllm18copy_blocks_kernelIhEEvPlS1_PKli.kd
    .uniform_work_group_size: 1
    .uses_dynamic_stack: false
    .vgpr_count:     6
    .vgpr_spill_count: 0
    .wavefront_size: 64
  - .agpr_count:     0
    .args:
      - .address_space:  global
        .offset:         0
        .size:           8
        .value_kind:     global_buffer
      - .actual_access:  read_only
        .address_space:  global
        .offset:         8
        .size:           8
        .value_kind:     global_buffer
      - .offset:         16
        .size:           4
        .value_kind:     by_value
      - .offset:         24
        .size:           4
        .value_kind:     hidden_block_count_x
      - .offset:         28
        .size:           4
        .value_kind:     hidden_block_count_y
      - .offset:         32
        .size:           4
        .value_kind:     hidden_block_count_z
      - .offset:         36
        .size:           2
        .value_kind:     hidden_group_size_x
      - .offset:         38
        .size:           2
        .value_kind:     hidden_group_size_y
      - .offset:         40
        .size:           2
        .value_kind:     hidden_group_size_z
      - .offset:         42
        .size:           2
        .value_kind:     hidden_remainder_x
      - .offset:         44
        .size:           2
        .value_kind:     hidden_remainder_y
      - .offset:         46
        .size:           2
        .value_kind:     hidden_remainder_z
      - .offset:         64
        .size:           8
        .value_kind:     hidden_global_offset_x
      - .offset:         72
        .size:           8
        .value_kind:     hidden_global_offset_y
      - .offset:         80
        .size:           8
        .value_kind:     hidden_global_offset_z
      - .offset:         88
        .size:           2
        .value_kind:     hidden_grid_dims
    .group_segment_fixed_size: 0
    .kernarg_segment_align: 8
    .kernarg_segment_size: 280
    .language:       OpenCL C
    .language_version:
      - 2
      - 0
    .max_flat_workgroup_size: 1024
    .name:           _ZN4vllm22copy_blocks_mla_kernelIfEEvPlPKli
    .private_segment_fixed_size: 0
    .sgpr_count:     22
    .sgpr_spill_count: 0
    .symbol:         _ZN4vllm22copy_blocks_mla_kernelIfEEvPlPKli.kd
    .uniform_work_group_size: 1
    .uses_dynamic_stack: false
    .vgpr_count:     6
    .vgpr_spill_count: 0
    .wavefront_size: 64
  - .agpr_count:     0
    .args:
      - .address_space:  global
        .offset:         0
        .size:           8
        .value_kind:     global_buffer
      - .actual_access:  read_only
        .address_space:  global
        .offset:         8
        .size:           8
        .value_kind:     global_buffer
      - .offset:         16
        .size:           4
        .value_kind:     by_value
      - .offset:         24
        .size:           4
        .value_kind:     hidden_block_count_x
      - .offset:         28
        .size:           4
        .value_kind:     hidden_block_count_y
      - .offset:         32
        .size:           4
        .value_kind:     hidden_block_count_z
      - .offset:         36
        .size:           2
        .value_kind:     hidden_group_size_x
      - .offset:         38
        .size:           2
        .value_kind:     hidden_group_size_y
      - .offset:         40
        .size:           2
        .value_kind:     hidden_group_size_z
      - .offset:         42
        .size:           2
        .value_kind:     hidden_remainder_x
      - .offset:         44
        .size:           2
        .value_kind:     hidden_remainder_y
      - .offset:         46
        .size:           2
        .value_kind:     hidden_remainder_z
      - .offset:         64
        .size:           8
        .value_kind:     hidden_global_offset_x
      - .offset:         72
        .size:           8
        .value_kind:     hidden_global_offset_y
      - .offset:         80
        .size:           8
        .value_kind:     hidden_global_offset_z
      - .offset:         88
        .size:           2
        .value_kind:     hidden_grid_dims
    .group_segment_fixed_size: 0
    .kernarg_segment_align: 8
    .kernarg_segment_size: 280
    .language:       OpenCL C
    .language_version:
      - 2
      - 0
    .max_flat_workgroup_size: 1024
    .name:           _ZN4vllm22copy_blocks_mla_kernelIN3c104HalfEEEvPlPKli
    .private_segment_fixed_size: 0
    .sgpr_count:     22
    .sgpr_spill_count: 0
    .symbol:         _ZN4vllm22copy_blocks_mla_kernelIN3c104HalfEEEvPlPKli.kd
    .uniform_work_group_size: 1
    .uses_dynamic_stack: false
    .vgpr_count:     6
    .vgpr_spill_count: 0
    .wavefront_size: 64
  - .agpr_count:     0
    .args:
      - .address_space:  global
        .offset:         0
        .size:           8
        .value_kind:     global_buffer
      - .actual_access:  read_only
        .address_space:  global
        .offset:         8
        .size:           8
        .value_kind:     global_buffer
      - .offset:         16
        .size:           4
        .value_kind:     by_value
      - .offset:         24
        .size:           4
        .value_kind:     hidden_block_count_x
      - .offset:         28
        .size:           4
        .value_kind:     hidden_block_count_y
      - .offset:         32
        .size:           4
        .value_kind:     hidden_block_count_z
      - .offset:         36
        .size:           2
        .value_kind:     hidden_group_size_x
      - .offset:         38
        .size:           2
        .value_kind:     hidden_group_size_y
      - .offset:         40
        .size:           2
        .value_kind:     hidden_group_size_z
      - .offset:         42
        .size:           2
        .value_kind:     hidden_remainder_x
      - .offset:         44
        .size:           2
        .value_kind:     hidden_remainder_y
      - .offset:         46
        .size:           2
        .value_kind:     hidden_remainder_z
      - .offset:         64
        .size:           8
        .value_kind:     hidden_global_offset_x
      - .offset:         72
        .size:           8
        .value_kind:     hidden_global_offset_y
      - .offset:         80
        .size:           8
        .value_kind:     hidden_global_offset_z
      - .offset:         88
        .size:           2
        .value_kind:     hidden_grid_dims
    .group_segment_fixed_size: 0
    .kernarg_segment_align: 8
    .kernarg_segment_size: 280
    .language:       OpenCL C
    .language_version:
      - 2
      - 0
    .max_flat_workgroup_size: 1024
    .name:           _ZN4vllm22copy_blocks_mla_kernelIN3c108BFloat16EEEvPlPKli
    .private_segment_fixed_size: 0
    .sgpr_count:     22
    .sgpr_spill_count: 0
    .symbol:         _ZN4vllm22copy_blocks_mla_kernelIN3c108BFloat16EEEvPlPKli.kd
    .uniform_work_group_size: 1
    .uses_dynamic_stack: false
    .vgpr_count:     6
    .vgpr_spill_count: 0
    .wavefront_size: 64
  - .agpr_count:     0
    .args:
      - .address_space:  global
        .offset:         0
        .size:           8
        .value_kind:     global_buffer
      - .actual_access:  read_only
        .address_space:  global
        .offset:         8
        .size:           8
        .value_kind:     global_buffer
      - .offset:         16
        .size:           4
        .value_kind:     by_value
      - .offset:         24
        .size:           4
        .value_kind:     hidden_block_count_x
      - .offset:         28
        .size:           4
        .value_kind:     hidden_block_count_y
      - .offset:         32
        .size:           4
        .value_kind:     hidden_block_count_z
      - .offset:         36
        .size:           2
        .value_kind:     hidden_group_size_x
      - .offset:         38
        .size:           2
        .value_kind:     hidden_group_size_y
      - .offset:         40
        .size:           2
        .value_kind:     hidden_group_size_z
      - .offset:         42
        .size:           2
        .value_kind:     hidden_remainder_x
      - .offset:         44
        .size:           2
        .value_kind:     hidden_remainder_y
      - .offset:         46
        .size:           2
        .value_kind:     hidden_remainder_z
      - .offset:         64
        .size:           8
        .value_kind:     hidden_global_offset_x
      - .offset:         72
        .size:           8
        .value_kind:     hidden_global_offset_y
      - .offset:         80
        .size:           8
        .value_kind:     hidden_global_offset_z
      - .offset:         88
        .size:           2
        .value_kind:     hidden_grid_dims
    .group_segment_fixed_size: 0
    .kernarg_segment_align: 8
    .kernarg_segment_size: 280
    .language:       OpenCL C
    .language_version:
      - 2
      - 0
    .max_flat_workgroup_size: 1024
    .name:           _ZN4vllm22copy_blocks_mla_kernelIhEEvPlPKli
    .private_segment_fixed_size: 0
    .sgpr_count:     22
    .sgpr_spill_count: 0
    .symbol:         _ZN4vllm22copy_blocks_mla_kernelIhEEvPlPKli.kd
    .uniform_work_group_size: 1
    .uses_dynamic_stack: false
    .vgpr_count:     5
    .vgpr_spill_count: 0
    .wavefront_size: 64
  - .agpr_count:     0
    .args:
      - .actual_access:  read_only
        .address_space:  global
        .offset:         0
        .size:           8
        .value_kind:     global_buffer
      - .actual_access:  read_only
        .address_space:  global
        .offset:         8
        .size:           8
        .value_kind:     global_buffer
      - .actual_access:  write_only
        .address_space:  global
        .offset:         16
        .size:           8
        .value_kind:     global_buffer
      - .actual_access:  write_only
        .address_space:  global
        .offset:         24
        .size:           8
        .value_kind:     global_buffer
      - .actual_access:  read_only
        .address_space:  global
        .offset:         32
        .size:           8
        .value_kind:     global_buffer
      - .offset:         40
        .size:           4
        .value_kind:     by_value
      - .offset:         44
        .size:           4
        .value_kind:     by_value
      - .offset:         48
        .size:           4
        .value_kind:     by_value
      - .offset:         52
        .size:           4
        .value_kind:     by_value
      - .offset:         56
        .size:           4
        .value_kind:     by_value
      - .offset:         60
        .size:           4
        .value_kind:     by_value
      - .address_space:  global
        .offset:         64
        .size:           8
        .value_kind:     global_buffer
      - .address_space:  global
        .offset:         72
        .size:           8
        .value_kind:     global_buffer
      - .offset:         80
        .size:           4
        .value_kind:     hidden_block_count_x
      - .offset:         84
        .size:           4
        .value_kind:     hidden_block_count_y
      - .offset:         88
        .size:           4
        .value_kind:     hidden_block_count_z
      - .offset:         92
        .size:           2
        .value_kind:     hidden_group_size_x
      - .offset:         94
        .size:           2
        .value_kind:     hidden_group_size_y
      - .offset:         96
        .size:           2
        .value_kind:     hidden_group_size_z
      - .offset:         98
        .size:           2
        .value_kind:     hidden_remainder_x
      - .offset:         100
        .size:           2
        .value_kind:     hidden_remainder_y
      - .offset:         102
        .size:           2
        .value_kind:     hidden_remainder_z
      - .offset:         120
        .size:           8
        .value_kind:     hidden_global_offset_x
      - .offset:         128
        .size:           8
        .value_kind:     hidden_global_offset_y
      - .offset:         136
        .size:           8
        .value_kind:     hidden_global_offset_z
      - .offset:         144
        .size:           2
        .value_kind:     hidden_grid_dims
    .group_segment_fixed_size: 0
    .kernarg_segment_align: 8
    .kernarg_segment_size: 336
    .language:       OpenCL C
    .language_version:
      - 2
      - 0
    .max_flat_workgroup_size: 1024
    .name:           _ZN4vllm24reshape_and_cache_kernelIffLNS_18Fp8KVCacheDataTypeE0EEEvPKT_S4_PT0_S6_PKliiiiiiPKfSA_
    .private_segment_fixed_size: 0
    .sgpr_count:     42
    .sgpr_spill_count: 0
    .symbol:         _ZN4vllm24reshape_and_cache_kernelIffLNS_18Fp8KVCacheDataTypeE0EEEvPKT_S4_PT0_S6_PKliiiiiiPKfSA_.kd
    .uniform_work_group_size: 1
    .uses_dynamic_stack: false
    .vgpr_count:     14
    .vgpr_spill_count: 0
    .wavefront_size: 64
  - .agpr_count:     0
    .args:
      - .actual_access:  read_only
        .address_space:  global
        .offset:         0
        .size:           8
        .value_kind:     global_buffer
      - .actual_access:  read_only
        .address_space:  global
        .offset:         8
        .size:           8
        .value_kind:     global_buffer
      - .actual_access:  write_only
        .address_space:  global
        .offset:         16
        .size:           8
        .value_kind:     global_buffer
      - .actual_access:  write_only
        .address_space:  global
        .offset:         24
        .size:           8
        .value_kind:     global_buffer
      - .actual_access:  read_only
        .address_space:  global
        .offset:         32
        .size:           8
        .value_kind:     global_buffer
      - .offset:         40
        .size:           4
        .value_kind:     by_value
      - .offset:         44
        .size:           4
        .value_kind:     by_value
      - .offset:         48
        .size:           4
        .value_kind:     by_value
      - .offset:         52
        .size:           4
        .value_kind:     by_value
      - .offset:         56
        .size:           4
        .value_kind:     by_value
      - .offset:         60
        .size:           4
        .value_kind:     by_value
      - .address_space:  global
        .offset:         64
        .size:           8
        .value_kind:     global_buffer
      - .address_space:  global
        .offset:         72
        .size:           8
        .value_kind:     global_buffer
      - .offset:         80
        .size:           4
        .value_kind:     hidden_block_count_x
      - .offset:         84
        .size:           4
        .value_kind:     hidden_block_count_y
      - .offset:         88
        .size:           4
        .value_kind:     hidden_block_count_z
      - .offset:         92
        .size:           2
        .value_kind:     hidden_group_size_x
      - .offset:         94
        .size:           2
        .value_kind:     hidden_group_size_y
      - .offset:         96
        .size:           2
        .value_kind:     hidden_group_size_z
      - .offset:         98
        .size:           2
        .value_kind:     hidden_remainder_x
      - .offset:         100
        .size:           2
        .value_kind:     hidden_remainder_y
      - .offset:         102
        .size:           2
        .value_kind:     hidden_remainder_z
      - .offset:         120
        .size:           8
        .value_kind:     hidden_global_offset_x
      - .offset:         128
        .size:           8
        .value_kind:     hidden_global_offset_y
      - .offset:         136
        .size:           8
        .value_kind:     hidden_global_offset_z
      - .offset:         144
        .size:           2
        .value_kind:     hidden_grid_dims
    .group_segment_fixed_size: 0
    .kernarg_segment_align: 8
    .kernarg_segment_size: 336
    .language:       OpenCL C
    .language_version:
      - 2
      - 0
    .max_flat_workgroup_size: 1024
    .name:           _ZN4vllm24reshape_and_cache_kernelIttLNS_18Fp8KVCacheDataTypeE0EEEvPKT_S4_PT0_S6_PKliiiiiiPKfSA_
    .private_segment_fixed_size: 0
    .sgpr_count:     42
    .sgpr_spill_count: 0
    .symbol:         _ZN4vllm24reshape_and_cache_kernelIttLNS_18Fp8KVCacheDataTypeE0EEEvPKT_S4_PT0_S6_PKliiiiiiPKfSA_.kd
    .uniform_work_group_size: 1
    .uses_dynamic_stack: false
    .vgpr_count:     14
    .vgpr_spill_count: 0
    .wavefront_size: 64
  - .agpr_count:     0
    .args:
      - .actual_access:  read_only
        .address_space:  global
        .offset:         0
        .size:           8
        .value_kind:     global_buffer
      - .actual_access:  read_only
        .address_space:  global
        .offset:         8
        .size:           8
        .value_kind:     global_buffer
      - .actual_access:  write_only
        .address_space:  global
        .offset:         16
        .size:           8
        .value_kind:     global_buffer
      - .actual_access:  write_only
        .address_space:  global
        .offset:         24
        .size:           8
        .value_kind:     global_buffer
      - .actual_access:  read_only
        .address_space:  global
        .offset:         32
        .size:           8
        .value_kind:     global_buffer
      - .offset:         40
        .size:           4
        .value_kind:     by_value
      - .offset:         44
        .size:           4
        .value_kind:     by_value
      - .offset:         48
        .size:           4
        .value_kind:     by_value
      - .offset:         52
        .size:           4
        .value_kind:     by_value
      - .offset:         56
        .size:           4
        .value_kind:     by_value
      - .offset:         60
        .size:           4
        .value_kind:     by_value
      - .address_space:  global
        .offset:         64
        .size:           8
        .value_kind:     global_buffer
      - .address_space:  global
        .offset:         72
        .size:           8
        .value_kind:     global_buffer
      - .offset:         80
        .size:           4
        .value_kind:     hidden_block_count_x
      - .offset:         84
        .size:           4
        .value_kind:     hidden_block_count_y
      - .offset:         88
        .size:           4
        .value_kind:     hidden_block_count_z
      - .offset:         92
        .size:           2
        .value_kind:     hidden_group_size_x
      - .offset:         94
        .size:           2
        .value_kind:     hidden_group_size_y
      - .offset:         96
        .size:           2
        .value_kind:     hidden_group_size_z
      - .offset:         98
        .size:           2
        .value_kind:     hidden_remainder_x
      - .offset:         100
        .size:           2
        .value_kind:     hidden_remainder_y
      - .offset:         102
        .size:           2
        .value_kind:     hidden_remainder_z
      - .offset:         120
        .size:           8
        .value_kind:     hidden_global_offset_x
      - .offset:         128
        .size:           8
        .value_kind:     hidden_global_offset_y
      - .offset:         136
        .size:           8
        .value_kind:     hidden_global_offset_z
      - .offset:         144
        .size:           2
        .value_kind:     hidden_grid_dims
    .group_segment_fixed_size: 0
    .kernarg_segment_align: 8
    .kernarg_segment_size: 336
    .language:       OpenCL C
    .language_version:
      - 2
      - 0
    .max_flat_workgroup_size: 1024
    .name:           _ZN4vllm24reshape_and_cache_kernelI14__hip_bfloat16S1_LNS_18Fp8KVCacheDataTypeE0EEEvPKT_S5_PT0_S7_PKliiiiiiPKfSB_
    .private_segment_fixed_size: 0
    .sgpr_count:     42
    .sgpr_spill_count: 0
    .symbol:         _ZN4vllm24reshape_and_cache_kernelI14__hip_bfloat16S1_LNS_18Fp8KVCacheDataTypeE0EEEvPKT_S5_PT0_S7_PKliiiiiiPKfSB_.kd
    .uniform_work_group_size: 1
    .uses_dynamic_stack: false
    .vgpr_count:     14
    .vgpr_spill_count: 0
    .wavefront_size: 64
  - .agpr_count:     0
    .args:
      - .actual_access:  read_only
        .address_space:  global
        .offset:         0
        .size:           8
        .value_kind:     global_buffer
      - .actual_access:  read_only
        .address_space:  global
        .offset:         8
        .size:           8
        .value_kind:     global_buffer
      - .actual_access:  write_only
        .address_space:  global
        .offset:         16
        .size:           8
        .value_kind:     global_buffer
      - .actual_access:  write_only
        .address_space:  global
        .offset:         24
        .size:           8
        .value_kind:     global_buffer
      - .actual_access:  read_only
        .address_space:  global
        .offset:         32
        .size:           8
        .value_kind:     global_buffer
      - .offset:         40
        .size:           4
        .value_kind:     by_value
      - .offset:         44
        .size:           4
        .value_kind:     by_value
      - .offset:         48
        .size:           4
        .value_kind:     by_value
      - .offset:         52
        .size:           4
        .value_kind:     by_value
      - .offset:         56
        .size:           4
        .value_kind:     by_value
      - .offset:         60
        .size:           4
        .value_kind:     by_value
      - .address_space:  global
        .offset:         64
        .size:           8
        .value_kind:     global_buffer
      - .address_space:  global
        .offset:         72
        .size:           8
        .value_kind:     global_buffer
      - .offset:         80
        .size:           4
        .value_kind:     hidden_block_count_x
      - .offset:         84
        .size:           4
        .value_kind:     hidden_block_count_y
      - .offset:         88
        .size:           4
        .value_kind:     hidden_block_count_z
      - .offset:         92
        .size:           2
        .value_kind:     hidden_group_size_x
      - .offset:         94
        .size:           2
        .value_kind:     hidden_group_size_y
      - .offset:         96
        .size:           2
        .value_kind:     hidden_group_size_z
      - .offset:         98
        .size:           2
        .value_kind:     hidden_remainder_x
      - .offset:         100
        .size:           2
        .value_kind:     hidden_remainder_y
      - .offset:         102
        .size:           2
        .value_kind:     hidden_remainder_z
      - .offset:         120
        .size:           8
        .value_kind:     hidden_global_offset_x
      - .offset:         128
        .size:           8
        .value_kind:     hidden_global_offset_y
      - .offset:         136
        .size:           8
        .value_kind:     hidden_global_offset_z
      - .offset:         144
        .size:           2
        .value_kind:     hidden_grid_dims
    .group_segment_fixed_size: 0
    .kernarg_segment_align: 8
    .kernarg_segment_size: 336
    .language:       OpenCL C
    .language_version:
      - 2
      - 0
    .max_flat_workgroup_size: 1024
    .name:           _ZN4vllm24reshape_and_cache_kernelIfhLNS_18Fp8KVCacheDataTypeE1EEEvPKT_S4_PT0_S6_PKliiiiiiPKfSA_
    .private_segment_fixed_size: 0
    .sgpr_count:     46
    .sgpr_spill_count: 0
    .symbol:         _ZN4vllm24reshape_and_cache_kernelIfhLNS_18Fp8KVCacheDataTypeE1EEEvPKT_S4_PT0_S6_PKliiiiiiPKfSA_.kd
    .uniform_work_group_size: 1
    .uses_dynamic_stack: false
    .vgpr_count:     23
    .vgpr_spill_count: 0
    .wavefront_size: 64
  - .agpr_count:     0
    .args:
      - .actual_access:  read_only
        .address_space:  global
        .offset:         0
        .size:           8
        .value_kind:     global_buffer
      - .actual_access:  read_only
        .address_space:  global
        .offset:         8
        .size:           8
        .value_kind:     global_buffer
      - .actual_access:  write_only
        .address_space:  global
        .offset:         16
        .size:           8
        .value_kind:     global_buffer
      - .actual_access:  write_only
        .address_space:  global
        .offset:         24
        .size:           8
        .value_kind:     global_buffer
      - .actual_access:  read_only
        .address_space:  global
        .offset:         32
        .size:           8
        .value_kind:     global_buffer
      - .offset:         40
        .size:           4
        .value_kind:     by_value
      - .offset:         44
        .size:           4
        .value_kind:     by_value
      - .offset:         48
        .size:           4
        .value_kind:     by_value
      - .offset:         52
        .size:           4
        .value_kind:     by_value
      - .offset:         56
        .size:           4
        .value_kind:     by_value
      - .offset:         60
        .size:           4
        .value_kind:     by_value
      - .address_space:  global
        .offset:         64
        .size:           8
        .value_kind:     global_buffer
      - .address_space:  global
        .offset:         72
        .size:           8
        .value_kind:     global_buffer
      - .offset:         80
        .size:           4
        .value_kind:     hidden_block_count_x
      - .offset:         84
        .size:           4
        .value_kind:     hidden_block_count_y
      - .offset:         88
        .size:           4
        .value_kind:     hidden_block_count_z
      - .offset:         92
        .size:           2
        .value_kind:     hidden_group_size_x
      - .offset:         94
        .size:           2
        .value_kind:     hidden_group_size_y
      - .offset:         96
        .size:           2
        .value_kind:     hidden_group_size_z
      - .offset:         98
        .size:           2
        .value_kind:     hidden_remainder_x
      - .offset:         100
        .size:           2
        .value_kind:     hidden_remainder_y
      - .offset:         102
        .size:           2
        .value_kind:     hidden_remainder_z
      - .offset:         120
        .size:           8
        .value_kind:     hidden_global_offset_x
      - .offset:         128
        .size:           8
        .value_kind:     hidden_global_offset_y
      - .offset:         136
        .size:           8
        .value_kind:     hidden_global_offset_z
      - .offset:         144
        .size:           2
        .value_kind:     hidden_grid_dims
    .group_segment_fixed_size: 0
    .kernarg_segment_align: 8
    .kernarg_segment_size: 336
    .language:       OpenCL C
    .language_version:
      - 2
      - 0
    .max_flat_workgroup_size: 1024
    .name:           _ZN4vllm24reshape_and_cache_kernelIthLNS_18Fp8KVCacheDataTypeE1EEEvPKT_S4_PT0_S6_PKliiiiiiPKfSA_
    .private_segment_fixed_size: 0
    .sgpr_count:     46
    .sgpr_spill_count: 0
    .symbol:         _ZN4vllm24reshape_and_cache_kernelIthLNS_18Fp8KVCacheDataTypeE1EEEvPKT_S4_PT0_S6_PKliiiiiiPKfSA_.kd
    .uniform_work_group_size: 1
    .uses_dynamic_stack: false
    .vgpr_count:     25
    .vgpr_spill_count: 0
    .wavefront_size: 64
  - .agpr_count:     0
    .args:
      - .actual_access:  read_only
        .address_space:  global
        .offset:         0
        .size:           8
        .value_kind:     global_buffer
      - .actual_access:  read_only
        .address_space:  global
        .offset:         8
        .size:           8
        .value_kind:     global_buffer
      - .actual_access:  write_only
        .address_space:  global
        .offset:         16
        .size:           8
        .value_kind:     global_buffer
      - .actual_access:  write_only
        .address_space:  global
        .offset:         24
        .size:           8
        .value_kind:     global_buffer
      - .actual_access:  read_only
        .address_space:  global
        .offset:         32
        .size:           8
        .value_kind:     global_buffer
      - .offset:         40
        .size:           4
        .value_kind:     by_value
      - .offset:         44
        .size:           4
        .value_kind:     by_value
      - .offset:         48
        .size:           4
        .value_kind:     by_value
      - .offset:         52
        .size:           4
        .value_kind:     by_value
      - .offset:         56
        .size:           4
        .value_kind:     by_value
      - .offset:         60
        .size:           4
        .value_kind:     by_value
      - .address_space:  global
        .offset:         64
        .size:           8
        .value_kind:     global_buffer
      - .address_space:  global
        .offset:         72
        .size:           8
        .value_kind:     global_buffer
      - .offset:         80
        .size:           4
        .value_kind:     hidden_block_count_x
      - .offset:         84
        .size:           4
        .value_kind:     hidden_block_count_y
      - .offset:         88
        .size:           4
        .value_kind:     hidden_block_count_z
      - .offset:         92
        .size:           2
        .value_kind:     hidden_group_size_x
      - .offset:         94
        .size:           2
        .value_kind:     hidden_group_size_y
      - .offset:         96
        .size:           2
        .value_kind:     hidden_group_size_z
      - .offset:         98
        .size:           2
        .value_kind:     hidden_remainder_x
      - .offset:         100
        .size:           2
        .value_kind:     hidden_remainder_y
      - .offset:         102
        .size:           2
        .value_kind:     hidden_remainder_z
      - .offset:         120
        .size:           8
        .value_kind:     hidden_global_offset_x
      - .offset:         128
        .size:           8
        .value_kind:     hidden_global_offset_y
      - .offset:         136
        .size:           8
        .value_kind:     hidden_global_offset_z
      - .offset:         144
        .size:           2
        .value_kind:     hidden_grid_dims
    .group_segment_fixed_size: 0
    .kernarg_segment_align: 8
    .kernarg_segment_size: 336
    .language:       OpenCL C
    .language_version:
      - 2
      - 0
    .max_flat_workgroup_size: 1024
    .name:           _ZN4vllm24reshape_and_cache_kernelI14__hip_bfloat16hLNS_18Fp8KVCacheDataTypeE1EEEvPKT_S5_PT0_S7_PKliiiiiiPKfSB_
    .private_segment_fixed_size: 0
    .sgpr_count:     46
    .sgpr_spill_count: 0
    .symbol:         _ZN4vllm24reshape_and_cache_kernelI14__hip_bfloat16hLNS_18Fp8KVCacheDataTypeE1EEEvPKT_S5_PT0_S7_PKliiiiiiPKfSB_.kd
    .uniform_work_group_size: 1
    .uses_dynamic_stack: false
    .vgpr_count:     23
    .vgpr_spill_count: 0
    .wavefront_size: 64
  - .agpr_count:     0
    .args:
      - .address_space:  global
        .offset:         0
        .size:           8
        .value_kind:     global_buffer
      - .address_space:  global
        .offset:         8
        .size:           8
        .value_kind:     global_buffer
      - .actual_access:  write_only
        .address_space:  global
        .offset:         16
        .size:           8
        .value_kind:     global_buffer
      - .actual_access:  write_only
        .address_space:  global
        .offset:         24
        .size:           8
        .value_kind:     global_buffer
      - .actual_access:  read_only
        .address_space:  global
        .offset:         32
        .size:           8
        .value_kind:     global_buffer
      - .offset:         40
        .size:           8
        .value_kind:     by_value
      - .offset:         48
        .size:           8
        .value_kind:     by_value
      - .offset:         56
        .size:           8
        .value_kind:     by_value
      - .offset:         64
        .size:           8
        .value_kind:     by_value
      - .offset:         72
        .size:           8
        .value_kind:     by_value
      - .offset:         80
        .size:           4
        .value_kind:     by_value
      - .offset:         84
        .size:           4
        .value_kind:     by_value
      - .offset:         88
        .size:           4
        .value_kind:     by_value
      - .address_space:  global
        .offset:         96
        .size:           8
        .value_kind:     global_buffer
      - .address_space:  global
        .offset:         104
        .size:           8
        .value_kind:     global_buffer
      - .offset:         112
        .size:           4
        .value_kind:     hidden_block_count_x
      - .offset:         116
        .size:           4
        .value_kind:     hidden_block_count_y
      - .offset:         120
        .size:           4
        .value_kind:     hidden_block_count_z
      - .offset:         124
        .size:           2
        .value_kind:     hidden_group_size_x
      - .offset:         126
        .size:           2
        .value_kind:     hidden_group_size_y
      - .offset:         128
        .size:           2
        .value_kind:     hidden_group_size_z
      - .offset:         130
        .size:           2
        .value_kind:     hidden_remainder_x
      - .offset:         132
        .size:           2
        .value_kind:     hidden_remainder_y
      - .offset:         134
        .size:           2
        .value_kind:     hidden_remainder_z
      - .offset:         152
        .size:           8
        .value_kind:     hidden_global_offset_x
      - .offset:         160
        .size:           8
        .value_kind:     hidden_global_offset_y
      - .offset:         168
        .size:           8
        .value_kind:     hidden_global_offset_z
      - .offset:         176
        .size:           2
        .value_kind:     hidden_grid_dims
    .group_segment_fixed_size: 0
    .kernarg_segment_align: 8
    .kernarg_segment_size: 368
    .language:       OpenCL C
    .language_version:
      - 2
      - 0
    .max_flat_workgroup_size: 1024
    .name:           _ZN4vllm30reshape_and_cache_flash_kernelIffLNS_18Fp8KVCacheDataTypeE0EEEvPKT_S4_PT0_S6_PKlllllliiiPKfSA_
    .private_segment_fixed_size: 0
    .sgpr_count:     68
    .sgpr_spill_count: 0
    .symbol:         _ZN4vllm30reshape_and_cache_flash_kernelIffLNS_18Fp8KVCacheDataTypeE0EEEvPKT_S4_PT0_S6_PKlllllliiiPKfSA_.kd
    .uniform_work_group_size: 1
    .uses_dynamic_stack: false
    .vgpr_count:     54
    .vgpr_spill_count: 0
    .wavefront_size: 64
  - .agpr_count:     0
    .args:
      - .address_space:  global
        .offset:         0
        .size:           8
        .value_kind:     global_buffer
      - .address_space:  global
        .offset:         8
        .size:           8
        .value_kind:     global_buffer
      - .actual_access:  write_only
        .address_space:  global
        .offset:         16
        .size:           8
        .value_kind:     global_buffer
      - .actual_access:  write_only
        .address_space:  global
        .offset:         24
        .size:           8
        .value_kind:     global_buffer
      - .actual_access:  read_only
        .address_space:  global
        .offset:         32
        .size:           8
        .value_kind:     global_buffer
      - .offset:         40
        .size:           8
        .value_kind:     by_value
      - .offset:         48
        .size:           8
        .value_kind:     by_value
      - .offset:         56
        .size:           8
        .value_kind:     by_value
      - .offset:         64
        .size:           8
        .value_kind:     by_value
      - .offset:         72
        .size:           8
        .value_kind:     by_value
      - .offset:         80
        .size:           4
        .value_kind:     by_value
      - .offset:         84
        .size:           4
        .value_kind:     by_value
      - .offset:         88
        .size:           4
        .value_kind:     by_value
      - .address_space:  global
        .offset:         96
        .size:           8
        .value_kind:     global_buffer
      - .address_space:  global
        .offset:         104
        .size:           8
        .value_kind:     global_buffer
      - .offset:         112
        .size:           4
        .value_kind:     hidden_block_count_x
      - .offset:         116
        .size:           4
        .value_kind:     hidden_block_count_y
      - .offset:         120
        .size:           4
        .value_kind:     hidden_block_count_z
      - .offset:         124
        .size:           2
        .value_kind:     hidden_group_size_x
      - .offset:         126
        .size:           2
        .value_kind:     hidden_group_size_y
      - .offset:         128
        .size:           2
        .value_kind:     hidden_group_size_z
      - .offset:         130
        .size:           2
        .value_kind:     hidden_remainder_x
      - .offset:         132
        .size:           2
        .value_kind:     hidden_remainder_y
      - .offset:         134
        .size:           2
        .value_kind:     hidden_remainder_z
      - .offset:         152
        .size:           8
        .value_kind:     hidden_global_offset_x
      - .offset:         160
        .size:           8
        .value_kind:     hidden_global_offset_y
      - .offset:         168
        .size:           8
        .value_kind:     hidden_global_offset_z
      - .offset:         176
        .size:           2
        .value_kind:     hidden_grid_dims
    .group_segment_fixed_size: 0
    .kernarg_segment_align: 8
    .kernarg_segment_size: 368
    .language:       OpenCL C
    .language_version:
      - 2
      - 0
    .max_flat_workgroup_size: 1024
    .name:           _ZN4vllm30reshape_and_cache_flash_kernelIttLNS_18Fp8KVCacheDataTypeE0EEEvPKT_S4_PT0_S6_PKlllllliiiPKfSA_
    .private_segment_fixed_size: 0
    .sgpr_count:     66
    .sgpr_spill_count: 0
    .symbol:         _ZN4vllm30reshape_and_cache_flash_kernelIttLNS_18Fp8KVCacheDataTypeE0EEEvPKT_S4_PT0_S6_PKlllllliiiPKfSA_.kd
    .uniform_work_group_size: 1
    .uses_dynamic_stack: false
    .vgpr_count:     68
    .vgpr_spill_count: 0
    .wavefront_size: 64
  - .agpr_count:     0
    .args:
      - .address_space:  global
        .offset:         0
        .size:           8
        .value_kind:     global_buffer
      - .address_space:  global
        .offset:         8
        .size:           8
        .value_kind:     global_buffer
      - .actual_access:  write_only
        .address_space:  global
        .offset:         16
        .size:           8
        .value_kind:     global_buffer
      - .actual_access:  write_only
        .address_space:  global
        .offset:         24
        .size:           8
        .value_kind:     global_buffer
      - .actual_access:  read_only
        .address_space:  global
        .offset:         32
        .size:           8
        .value_kind:     global_buffer
      - .offset:         40
        .size:           8
        .value_kind:     by_value
      - .offset:         48
        .size:           8
        .value_kind:     by_value
      - .offset:         56
        .size:           8
        .value_kind:     by_value
      - .offset:         64
        .size:           8
        .value_kind:     by_value
      - .offset:         72
        .size:           8
        .value_kind:     by_value
      - .offset:         80
        .size:           4
        .value_kind:     by_value
      - .offset:         84
        .size:           4
        .value_kind:     by_value
      - .offset:         88
        .size:           4
        .value_kind:     by_value
      - .address_space:  global
        .offset:         96
        .size:           8
        .value_kind:     global_buffer
      - .address_space:  global
        .offset:         104
        .size:           8
        .value_kind:     global_buffer
      - .offset:         112
        .size:           4
        .value_kind:     hidden_block_count_x
      - .offset:         116
        .size:           4
        .value_kind:     hidden_block_count_y
      - .offset:         120
        .size:           4
        .value_kind:     hidden_block_count_z
      - .offset:         124
        .size:           2
        .value_kind:     hidden_group_size_x
      - .offset:         126
        .size:           2
        .value_kind:     hidden_group_size_y
      - .offset:         128
        .size:           2
        .value_kind:     hidden_group_size_z
      - .offset:         130
        .size:           2
        .value_kind:     hidden_remainder_x
      - .offset:         132
        .size:           2
        .value_kind:     hidden_remainder_y
      - .offset:         134
        .size:           2
        .value_kind:     hidden_remainder_z
      - .offset:         152
        .size:           8
        .value_kind:     hidden_global_offset_x
      - .offset:         160
        .size:           8
        .value_kind:     hidden_global_offset_y
      - .offset:         168
        .size:           8
        .value_kind:     hidden_global_offset_z
      - .offset:         176
        .size:           2
        .value_kind:     hidden_grid_dims
    .group_segment_fixed_size: 0
    .kernarg_segment_align: 8
    .kernarg_segment_size: 368
    .language:       OpenCL C
    .language_version:
      - 2
      - 0
    .max_flat_workgroup_size: 1024
    .name:           _ZN4vllm30reshape_and_cache_flash_kernelI14__hip_bfloat16S1_LNS_18Fp8KVCacheDataTypeE0EEEvPKT_S5_PT0_S7_PKlllllliiiPKfSB_
    .private_segment_fixed_size: 0
    .sgpr_count:     66
    .sgpr_spill_count: 0
    .symbol:         _ZN4vllm30reshape_and_cache_flash_kernelI14__hip_bfloat16S1_LNS_18Fp8KVCacheDataTypeE0EEEvPKT_S5_PT0_S7_PKlllllliiiPKfSB_.kd
    .uniform_work_group_size: 1
    .uses_dynamic_stack: false
    .vgpr_count:     68
    .vgpr_spill_count: 0
    .wavefront_size: 64
  - .agpr_count:     0
    .args:
      - .address_space:  global
        .offset:         0
        .size:           8
        .value_kind:     global_buffer
      - .address_space:  global
        .offset:         8
        .size:           8
        .value_kind:     global_buffer
      - .actual_access:  write_only
        .address_space:  global
        .offset:         16
        .size:           8
        .value_kind:     global_buffer
      - .actual_access:  write_only
        .address_space:  global
        .offset:         24
        .size:           8
        .value_kind:     global_buffer
      - .actual_access:  read_only
        .address_space:  global
        .offset:         32
        .size:           8
        .value_kind:     global_buffer
      - .offset:         40
        .size:           8
        .value_kind:     by_value
      - .offset:         48
        .size:           8
        .value_kind:     by_value
      - .offset:         56
        .size:           8
        .value_kind:     by_value
      - .offset:         64
        .size:           8
        .value_kind:     by_value
      - .offset:         72
        .size:           8
        .value_kind:     by_value
      - .offset:         80
        .size:           4
        .value_kind:     by_value
      - .offset:         84
        .size:           4
        .value_kind:     by_value
      - .offset:         88
        .size:           4
        .value_kind:     by_value
      - .address_space:  global
        .offset:         96
        .size:           8
        .value_kind:     global_buffer
      - .address_space:  global
        .offset:         104
        .size:           8
        .value_kind:     global_buffer
      - .offset:         112
        .size:           4
        .value_kind:     hidden_block_count_x
      - .offset:         116
        .size:           4
        .value_kind:     hidden_block_count_y
      - .offset:         120
        .size:           4
        .value_kind:     hidden_block_count_z
      - .offset:         124
        .size:           2
        .value_kind:     hidden_group_size_x
      - .offset:         126
        .size:           2
        .value_kind:     hidden_group_size_y
      - .offset:         128
        .size:           2
        .value_kind:     hidden_group_size_z
      - .offset:         130
        .size:           2
        .value_kind:     hidden_remainder_x
      - .offset:         132
        .size:           2
        .value_kind:     hidden_remainder_y
      - .offset:         134
        .size:           2
        .value_kind:     hidden_remainder_z
      - .offset:         152
        .size:           8
        .value_kind:     hidden_global_offset_x
      - .offset:         160
        .size:           8
        .value_kind:     hidden_global_offset_y
      - .offset:         168
        .size:           8
        .value_kind:     hidden_global_offset_z
      - .offset:         176
        .size:           2
        .value_kind:     hidden_grid_dims
    .group_segment_fixed_size: 0
    .kernarg_segment_align: 8
    .kernarg_segment_size: 368
    .language:       OpenCL C
    .language_version:
      - 2
      - 0
    .max_flat_workgroup_size: 1024
    .name:           _ZN4vllm30reshape_and_cache_flash_kernelIfhLNS_18Fp8KVCacheDataTypeE1EEEvPKT_S4_PT0_S6_PKlllllliiiPKfSA_
    .private_segment_fixed_size: 0
    .sgpr_count:     74
    .sgpr_spill_count: 0
    .symbol:         _ZN4vllm30reshape_and_cache_flash_kernelIfhLNS_18Fp8KVCacheDataTypeE1EEEvPKT_S4_PT0_S6_PKlllllliiiPKfSA_.kd
    .uniform_work_group_size: 1
    .uses_dynamic_stack: false
    .vgpr_count:     69
    .vgpr_spill_count: 0
    .wavefront_size: 64
  - .agpr_count:     0
    .args:
      - .address_space:  global
        .offset:         0
        .size:           8
        .value_kind:     global_buffer
      - .address_space:  global
        .offset:         8
        .size:           8
        .value_kind:     global_buffer
      - .actual_access:  write_only
        .address_space:  global
        .offset:         16
        .size:           8
        .value_kind:     global_buffer
      - .actual_access:  write_only
        .address_space:  global
        .offset:         24
        .size:           8
        .value_kind:     global_buffer
      - .actual_access:  read_only
        .address_space:  global
        .offset:         32
        .size:           8
        .value_kind:     global_buffer
      - .offset:         40
        .size:           8
        .value_kind:     by_value
      - .offset:         48
        .size:           8
        .value_kind:     by_value
      - .offset:         56
        .size:           8
        .value_kind:     by_value
      - .offset:         64
        .size:           8
        .value_kind:     by_value
      - .offset:         72
        .size:           8
        .value_kind:     by_value
      - .offset:         80
        .size:           4
        .value_kind:     by_value
      - .offset:         84
        .size:           4
        .value_kind:     by_value
      - .offset:         88
        .size:           4
        .value_kind:     by_value
      - .address_space:  global
        .offset:         96
        .size:           8
        .value_kind:     global_buffer
      - .address_space:  global
        .offset:         104
        .size:           8
        .value_kind:     global_buffer
      - .offset:         112
        .size:           4
        .value_kind:     hidden_block_count_x
      - .offset:         116
        .size:           4
        .value_kind:     hidden_block_count_y
      - .offset:         120
        .size:           4
        .value_kind:     hidden_block_count_z
      - .offset:         124
        .size:           2
        .value_kind:     hidden_group_size_x
      - .offset:         126
        .size:           2
        .value_kind:     hidden_group_size_y
      - .offset:         128
        .size:           2
        .value_kind:     hidden_group_size_z
      - .offset:         130
        .size:           2
        .value_kind:     hidden_remainder_x
      - .offset:         132
        .size:           2
        .value_kind:     hidden_remainder_y
      - .offset:         134
        .size:           2
        .value_kind:     hidden_remainder_z
      - .offset:         152
        .size:           8
        .value_kind:     hidden_global_offset_x
      - .offset:         160
        .size:           8
        .value_kind:     hidden_global_offset_y
      - .offset:         168
        .size:           8
        .value_kind:     hidden_global_offset_z
      - .offset:         176
        .size:           2
        .value_kind:     hidden_grid_dims
    .group_segment_fixed_size: 0
    .kernarg_segment_align: 8
    .kernarg_segment_size: 368
    .language:       OpenCL C
    .language_version:
      - 2
      - 0
    .max_flat_workgroup_size: 1024
    .name:           _ZN4vllm30reshape_and_cache_flash_kernelIthLNS_18Fp8KVCacheDataTypeE1EEEvPKT_S4_PT0_S6_PKlllllliiiPKfSA_
    .private_segment_fixed_size: 0
    .sgpr_count:     82
    .sgpr_spill_count: 0
    .symbol:         _ZN4vllm30reshape_and_cache_flash_kernelIthLNS_18Fp8KVCacheDataTypeE1EEEvPKT_S4_PT0_S6_PKlllllliiiPKfSA_.kd
    .uniform_work_group_size: 1
    .uses_dynamic_stack: false
    .vgpr_count:     94
    .vgpr_spill_count: 0
    .wavefront_size: 64
  - .agpr_count:     0
    .args:
      - .address_space:  global
        .offset:         0
        .size:           8
        .value_kind:     global_buffer
      - .address_space:  global
        .offset:         8
        .size:           8
        .value_kind:     global_buffer
      - .actual_access:  write_only
        .address_space:  global
        .offset:         16
        .size:           8
        .value_kind:     global_buffer
      - .actual_access:  write_only
        .address_space:  global
        .offset:         24
        .size:           8
        .value_kind:     global_buffer
      - .actual_access:  read_only
        .address_space:  global
        .offset:         32
        .size:           8
        .value_kind:     global_buffer
      - .offset:         40
        .size:           8
        .value_kind:     by_value
      - .offset:         48
        .size:           8
        .value_kind:     by_value
      - .offset:         56
        .size:           8
        .value_kind:     by_value
      - .offset:         64
        .size:           8
        .value_kind:     by_value
      - .offset:         72
        .size:           8
        .value_kind:     by_value
      - .offset:         80
        .size:           4
        .value_kind:     by_value
      - .offset:         84
        .size:           4
        .value_kind:     by_value
      - .offset:         88
        .size:           4
        .value_kind:     by_value
      - .address_space:  global
        .offset:         96
        .size:           8
        .value_kind:     global_buffer
      - .address_space:  global
        .offset:         104
        .size:           8
        .value_kind:     global_buffer
      - .offset:         112
        .size:           4
        .value_kind:     hidden_block_count_x
      - .offset:         116
        .size:           4
        .value_kind:     hidden_block_count_y
      - .offset:         120
        .size:           4
        .value_kind:     hidden_block_count_z
      - .offset:         124
        .size:           2
        .value_kind:     hidden_group_size_x
      - .offset:         126
        .size:           2
        .value_kind:     hidden_group_size_y
      - .offset:         128
        .size:           2
        .value_kind:     hidden_group_size_z
      - .offset:         130
        .size:           2
        .value_kind:     hidden_remainder_x
      - .offset:         132
        .size:           2
        .value_kind:     hidden_remainder_y
      - .offset:         134
        .size:           2
        .value_kind:     hidden_remainder_z
      - .offset:         152
        .size:           8
        .value_kind:     hidden_global_offset_x
      - .offset:         160
        .size:           8
        .value_kind:     hidden_global_offset_y
      - .offset:         168
        .size:           8
        .value_kind:     hidden_global_offset_z
      - .offset:         176
        .size:           2
        .value_kind:     hidden_grid_dims
    .group_segment_fixed_size: 0
    .kernarg_segment_align: 8
    .kernarg_segment_size: 368
    .language:       OpenCL C
    .language_version:
      - 2
      - 0
    .max_flat_workgroup_size: 1024
    .name:           _ZN4vllm30reshape_and_cache_flash_kernelI14__hip_bfloat16hLNS_18Fp8KVCacheDataTypeE1EEEvPKT_S5_PT0_S7_PKlllllliiiPKfSB_
    .private_segment_fixed_size: 0
    .sgpr_count:     82
    .sgpr_spill_count: 0
    .symbol:         _ZN4vllm30reshape_and_cache_flash_kernelI14__hip_bfloat16hLNS_18Fp8KVCacheDataTypeE1EEEvPKT_S5_PT0_S7_PKlllllliiiPKfSB_.kd
    .uniform_work_group_size: 1
    .uses_dynamic_stack: false
    .vgpr_count:     94
    .vgpr_spill_count: 0
    .wavefront_size: 64
  - .agpr_count:     0
    .args:
      - .actual_access:  read_only
        .address_space:  global
        .offset:         0
        .size:           8
        .value_kind:     global_buffer
      - .actual_access:  read_only
        .address_space:  global
        .offset:         8
        .size:           8
        .value_kind:     global_buffer
      - .actual_access:  write_only
        .address_space:  global
        .offset:         16
        .size:           8
        .value_kind:     global_buffer
      - .actual_access:  read_only
        .address_space:  global
        .offset:         24
        .size:           8
        .value_kind:     global_buffer
      - .offset:         32
        .size:           4
        .value_kind:     by_value
      - .offset:         36
        .size:           4
        .value_kind:     by_value
      - .offset:         40
        .size:           4
        .value_kind:     by_value
      - .offset:         44
        .size:           4
        .value_kind:     by_value
      - .offset:         48
        .size:           4
        .value_kind:     by_value
      - .offset:         52
        .size:           4
        .value_kind:     by_value
      - .offset:         56
        .size:           4
        .value_kind:     by_value
      - .address_space:  global
        .offset:         64
        .size:           8
        .value_kind:     global_buffer
      - .offset:         72
        .size:           4
        .value_kind:     hidden_block_count_x
      - .offset:         76
        .size:           4
        .value_kind:     hidden_block_count_y
      - .offset:         80
        .size:           4
        .value_kind:     hidden_block_count_z
      - .offset:         84
        .size:           2
        .value_kind:     hidden_group_size_x
      - .offset:         86
        .size:           2
        .value_kind:     hidden_group_size_y
      - .offset:         88
        .size:           2
        .value_kind:     hidden_group_size_z
      - .offset:         90
        .size:           2
        .value_kind:     hidden_remainder_x
      - .offset:         92
        .size:           2
        .value_kind:     hidden_remainder_y
      - .offset:         94
        .size:           2
        .value_kind:     hidden_remainder_z
      - .offset:         112
        .size:           8
        .value_kind:     hidden_global_offset_x
      - .offset:         120
        .size:           8
        .value_kind:     hidden_global_offset_y
      - .offset:         128
        .size:           8
        .value_kind:     hidden_global_offset_z
      - .offset:         136
        .size:           2
        .value_kind:     hidden_grid_dims
    .group_segment_fixed_size: 0
    .kernarg_segment_align: 8
    .kernarg_segment_size: 328
    .language:       OpenCL C
    .language_version:
      - 2
      - 0
    .max_flat_workgroup_size: 1024
    .name:           _ZN4vllm27concat_and_cache_mla_kernelIffLNS_18Fp8KVCacheDataTypeE0EEEvPKT_S4_PT0_PKliiiiiiiPKf
    .private_segment_fixed_size: 0
    .sgpr_count:     40
    .sgpr_spill_count: 0
    .symbol:         _ZN4vllm27concat_and_cache_mla_kernelIffLNS_18Fp8KVCacheDataTypeE0EEEvPKT_S4_PT0_PKliiiiiiiPKf.kd
    .uniform_work_group_size: 1
    .uses_dynamic_stack: false
    .vgpr_count:     8
    .vgpr_spill_count: 0
    .wavefront_size: 64
  - .agpr_count:     0
    .args:
      - .actual_access:  read_only
        .address_space:  global
        .offset:         0
        .size:           8
        .value_kind:     global_buffer
      - .actual_access:  read_only
        .address_space:  global
        .offset:         8
        .size:           8
        .value_kind:     global_buffer
      - .actual_access:  write_only
        .address_space:  global
        .offset:         16
        .size:           8
        .value_kind:     global_buffer
      - .actual_access:  read_only
        .address_space:  global
        .offset:         24
        .size:           8
        .value_kind:     global_buffer
      - .offset:         32
        .size:           4
        .value_kind:     by_value
      - .offset:         36
        .size:           4
        .value_kind:     by_value
      - .offset:         40
        .size:           4
        .value_kind:     by_value
      - .offset:         44
        .size:           4
        .value_kind:     by_value
      - .offset:         48
        .size:           4
        .value_kind:     by_value
      - .offset:         52
        .size:           4
        .value_kind:     by_value
      - .offset:         56
        .size:           4
        .value_kind:     by_value
      - .address_space:  global
        .offset:         64
        .size:           8
        .value_kind:     global_buffer
      - .offset:         72
        .size:           4
        .value_kind:     hidden_block_count_x
      - .offset:         76
        .size:           4
        .value_kind:     hidden_block_count_y
      - .offset:         80
        .size:           4
        .value_kind:     hidden_block_count_z
      - .offset:         84
        .size:           2
        .value_kind:     hidden_group_size_x
      - .offset:         86
        .size:           2
        .value_kind:     hidden_group_size_y
      - .offset:         88
        .size:           2
        .value_kind:     hidden_group_size_z
      - .offset:         90
        .size:           2
        .value_kind:     hidden_remainder_x
      - .offset:         92
        .size:           2
        .value_kind:     hidden_remainder_y
      - .offset:         94
        .size:           2
        .value_kind:     hidden_remainder_z
      - .offset:         112
        .size:           8
        .value_kind:     hidden_global_offset_x
      - .offset:         120
        .size:           8
        .value_kind:     hidden_global_offset_y
      - .offset:         128
        .size:           8
        .value_kind:     hidden_global_offset_z
      - .offset:         136
        .size:           2
        .value_kind:     hidden_grid_dims
    .group_segment_fixed_size: 0
    .kernarg_segment_align: 8
    .kernarg_segment_size: 328
    .language:       OpenCL C
    .language_version:
      - 2
      - 0
    .max_flat_workgroup_size: 1024
    .name:           _ZN4vllm27concat_and_cache_mla_kernelIttLNS_18Fp8KVCacheDataTypeE0EEEvPKT_S4_PT0_PKliiiiiiiPKf
    .private_segment_fixed_size: 0
    .sgpr_count:     40
    .sgpr_spill_count: 0
    .symbol:         _ZN4vllm27concat_and_cache_mla_kernelIttLNS_18Fp8KVCacheDataTypeE0EEEvPKT_S4_PT0_PKliiiiiiiPKf.kd
    .uniform_work_group_size: 1
    .uses_dynamic_stack: false
    .vgpr_count:     8
    .vgpr_spill_count: 0
    .wavefront_size: 64
  - .agpr_count:     0
    .args:
      - .actual_access:  read_only
        .address_space:  global
        .offset:         0
        .size:           8
        .value_kind:     global_buffer
      - .actual_access:  read_only
        .address_space:  global
        .offset:         8
        .size:           8
        .value_kind:     global_buffer
      - .actual_access:  write_only
        .address_space:  global
        .offset:         16
        .size:           8
        .value_kind:     global_buffer
      - .actual_access:  read_only
        .address_space:  global
        .offset:         24
        .size:           8
        .value_kind:     global_buffer
      - .offset:         32
        .size:           4
        .value_kind:     by_value
      - .offset:         36
        .size:           4
        .value_kind:     by_value
      - .offset:         40
        .size:           4
        .value_kind:     by_value
      - .offset:         44
        .size:           4
        .value_kind:     by_value
      - .offset:         48
        .size:           4
        .value_kind:     by_value
      - .offset:         52
        .size:           4
        .value_kind:     by_value
      - .offset:         56
        .size:           4
        .value_kind:     by_value
      - .address_space:  global
        .offset:         64
        .size:           8
        .value_kind:     global_buffer
      - .offset:         72
        .size:           4
        .value_kind:     hidden_block_count_x
      - .offset:         76
        .size:           4
        .value_kind:     hidden_block_count_y
      - .offset:         80
        .size:           4
        .value_kind:     hidden_block_count_z
      - .offset:         84
        .size:           2
        .value_kind:     hidden_group_size_x
      - .offset:         86
        .size:           2
        .value_kind:     hidden_group_size_y
      - .offset:         88
        .size:           2
        .value_kind:     hidden_group_size_z
      - .offset:         90
        .size:           2
        .value_kind:     hidden_remainder_x
      - .offset:         92
        .size:           2
        .value_kind:     hidden_remainder_y
      - .offset:         94
        .size:           2
        .value_kind:     hidden_remainder_z
      - .offset:         112
        .size:           8
        .value_kind:     hidden_global_offset_x
      - .offset:         120
        .size:           8
        .value_kind:     hidden_global_offset_y
      - .offset:         128
        .size:           8
        .value_kind:     hidden_global_offset_z
      - .offset:         136
        .size:           2
        .value_kind:     hidden_grid_dims
    .group_segment_fixed_size: 0
    .kernarg_segment_align: 8
    .kernarg_segment_size: 328
    .language:       OpenCL C
    .language_version:
      - 2
      - 0
    .max_flat_workgroup_size: 1024
    .name:           _ZN4vllm27concat_and_cache_mla_kernelI14__hip_bfloat16S1_LNS_18Fp8KVCacheDataTypeE0EEEvPKT_S5_PT0_PKliiiiiiiPKf
    .private_segment_fixed_size: 0
    .sgpr_count:     40
    .sgpr_spill_count: 0
    .symbol:         _ZN4vllm27concat_and_cache_mla_kernelI14__hip_bfloat16S1_LNS_18Fp8KVCacheDataTypeE0EEEvPKT_S5_PT0_PKliiiiiiiPKf.kd
    .uniform_work_group_size: 1
    .uses_dynamic_stack: false
    .vgpr_count:     8
    .vgpr_spill_count: 0
    .wavefront_size: 64
  - .agpr_count:     0
    .args:
      - .actual_access:  read_only
        .address_space:  global
        .offset:         0
        .size:           8
        .value_kind:     global_buffer
      - .actual_access:  read_only
        .address_space:  global
        .offset:         8
        .size:           8
        .value_kind:     global_buffer
      - .actual_access:  write_only
        .address_space:  global
        .offset:         16
        .size:           8
        .value_kind:     global_buffer
      - .actual_access:  read_only
        .address_space:  global
        .offset:         24
        .size:           8
        .value_kind:     global_buffer
      - .offset:         32
        .size:           4
        .value_kind:     by_value
      - .offset:         36
        .size:           4
        .value_kind:     by_value
      - .offset:         40
        .size:           4
        .value_kind:     by_value
      - .offset:         44
        .size:           4
        .value_kind:     by_value
      - .offset:         48
        .size:           4
        .value_kind:     by_value
      - .offset:         52
        .size:           4
        .value_kind:     by_value
      - .offset:         56
        .size:           4
        .value_kind:     by_value
      - .address_space:  global
        .offset:         64
        .size:           8
        .value_kind:     global_buffer
      - .offset:         72
        .size:           4
        .value_kind:     hidden_block_count_x
      - .offset:         76
        .size:           4
        .value_kind:     hidden_block_count_y
      - .offset:         80
        .size:           4
        .value_kind:     hidden_block_count_z
      - .offset:         84
        .size:           2
        .value_kind:     hidden_group_size_x
      - .offset:         86
        .size:           2
        .value_kind:     hidden_group_size_y
      - .offset:         88
        .size:           2
        .value_kind:     hidden_group_size_z
      - .offset:         90
        .size:           2
        .value_kind:     hidden_remainder_x
      - .offset:         92
        .size:           2
        .value_kind:     hidden_remainder_y
      - .offset:         94
        .size:           2
        .value_kind:     hidden_remainder_z
      - .offset:         112
        .size:           8
        .value_kind:     hidden_global_offset_x
      - .offset:         120
        .size:           8
        .value_kind:     hidden_global_offset_y
      - .offset:         128
        .size:           8
        .value_kind:     hidden_global_offset_z
      - .offset:         136
        .size:           2
        .value_kind:     hidden_grid_dims
    .group_segment_fixed_size: 0
    .kernarg_segment_align: 8
    .kernarg_segment_size: 328
    .language:       OpenCL C
    .language_version:
      - 2
      - 0
    .max_flat_workgroup_size: 1024
    .name:           _ZN4vllm27concat_and_cache_mla_kernelIfhLNS_18Fp8KVCacheDataTypeE1EEEvPKT_S4_PT0_PKliiiiiiiPKf
    .private_segment_fixed_size: 0
    .sgpr_count:     44
    .sgpr_spill_count: 0
    .symbol:         _ZN4vllm27concat_and_cache_mla_kernelIfhLNS_18Fp8KVCacheDataTypeE1EEEvPKT_S4_PT0_PKliiiiiiiPKf.kd
    .uniform_work_group_size: 1
    .uses_dynamic_stack: false
    .vgpr_count:     11
    .vgpr_spill_count: 0
    .wavefront_size: 64
  - .agpr_count:     0
    .args:
      - .actual_access:  read_only
        .address_space:  global
        .offset:         0
        .size:           8
        .value_kind:     global_buffer
      - .actual_access:  read_only
        .address_space:  global
        .offset:         8
        .size:           8
        .value_kind:     global_buffer
      - .actual_access:  write_only
        .address_space:  global
        .offset:         16
        .size:           8
        .value_kind:     global_buffer
      - .actual_access:  read_only
        .address_space:  global
        .offset:         24
        .size:           8
        .value_kind:     global_buffer
      - .offset:         32
        .size:           4
        .value_kind:     by_value
      - .offset:         36
        .size:           4
        .value_kind:     by_value
      - .offset:         40
        .size:           4
        .value_kind:     by_value
      - .offset:         44
        .size:           4
        .value_kind:     by_value
      - .offset:         48
        .size:           4
        .value_kind:     by_value
      - .offset:         52
        .size:           4
        .value_kind:     by_value
      - .offset:         56
        .size:           4
        .value_kind:     by_value
      - .address_space:  global
        .offset:         64
        .size:           8
        .value_kind:     global_buffer
      - .offset:         72
        .size:           4
        .value_kind:     hidden_block_count_x
      - .offset:         76
        .size:           4
        .value_kind:     hidden_block_count_y
      - .offset:         80
        .size:           4
        .value_kind:     hidden_block_count_z
      - .offset:         84
        .size:           2
        .value_kind:     hidden_group_size_x
      - .offset:         86
        .size:           2
        .value_kind:     hidden_group_size_y
      - .offset:         88
        .size:           2
        .value_kind:     hidden_group_size_z
      - .offset:         90
        .size:           2
        .value_kind:     hidden_remainder_x
      - .offset:         92
        .size:           2
        .value_kind:     hidden_remainder_y
      - .offset:         94
        .size:           2
        .value_kind:     hidden_remainder_z
      - .offset:         112
        .size:           8
        .value_kind:     hidden_global_offset_x
      - .offset:         120
        .size:           8
        .value_kind:     hidden_global_offset_y
      - .offset:         128
        .size:           8
        .value_kind:     hidden_global_offset_z
      - .offset:         136
        .size:           2
        .value_kind:     hidden_grid_dims
    .group_segment_fixed_size: 0
    .kernarg_segment_align: 8
    .kernarg_segment_size: 328
    .language:       OpenCL C
    .language_version:
      - 2
      - 0
    .max_flat_workgroup_size: 1024
    .name:           _ZN4vllm27concat_and_cache_mla_kernelIthLNS_18Fp8KVCacheDataTypeE1EEEvPKT_S4_PT0_PKliiiiiiiPKf
    .private_segment_fixed_size: 0
    .sgpr_count:     44
    .sgpr_spill_count: 0
    .symbol:         _ZN4vllm27concat_and_cache_mla_kernelIthLNS_18Fp8KVCacheDataTypeE1EEEvPKT_S4_PT0_PKliiiiiiiPKf.kd
    .uniform_work_group_size: 1
    .uses_dynamic_stack: false
    .vgpr_count:     10
    .vgpr_spill_count: 0
    .wavefront_size: 64
  - .agpr_count:     0
    .args:
      - .actual_access:  read_only
        .address_space:  global
        .offset:         0
        .size:           8
        .value_kind:     global_buffer
      - .actual_access:  read_only
        .address_space:  global
        .offset:         8
        .size:           8
        .value_kind:     global_buffer
      - .actual_access:  write_only
        .address_space:  global
        .offset:         16
        .size:           8
        .value_kind:     global_buffer
      - .actual_access:  read_only
        .address_space:  global
        .offset:         24
        .size:           8
        .value_kind:     global_buffer
      - .offset:         32
        .size:           4
        .value_kind:     by_value
      - .offset:         36
        .size:           4
        .value_kind:     by_value
      - .offset:         40
        .size:           4
        .value_kind:     by_value
      - .offset:         44
        .size:           4
        .value_kind:     by_value
      - .offset:         48
        .size:           4
        .value_kind:     by_value
      - .offset:         52
        .size:           4
        .value_kind:     by_value
      - .offset:         56
        .size:           4
        .value_kind:     by_value
      - .address_space:  global
        .offset:         64
        .size:           8
        .value_kind:     global_buffer
      - .offset:         72
        .size:           4
        .value_kind:     hidden_block_count_x
      - .offset:         76
        .size:           4
        .value_kind:     hidden_block_count_y
      - .offset:         80
        .size:           4
        .value_kind:     hidden_block_count_z
      - .offset:         84
        .size:           2
        .value_kind:     hidden_group_size_x
      - .offset:         86
        .size:           2
        .value_kind:     hidden_group_size_y
      - .offset:         88
        .size:           2
        .value_kind:     hidden_group_size_z
      - .offset:         90
        .size:           2
        .value_kind:     hidden_remainder_x
      - .offset:         92
        .size:           2
        .value_kind:     hidden_remainder_y
      - .offset:         94
        .size:           2
        .value_kind:     hidden_remainder_z
      - .offset:         112
        .size:           8
        .value_kind:     hidden_global_offset_x
      - .offset:         120
        .size:           8
        .value_kind:     hidden_global_offset_y
      - .offset:         128
        .size:           8
        .value_kind:     hidden_global_offset_z
      - .offset:         136
        .size:           2
        .value_kind:     hidden_grid_dims
    .group_segment_fixed_size: 0
    .kernarg_segment_align: 8
    .kernarg_segment_size: 328
    .language:       OpenCL C
    .language_version:
      - 2
      - 0
    .max_flat_workgroup_size: 1024
    .name:           _ZN4vllm27concat_and_cache_mla_kernelI14__hip_bfloat16hLNS_18Fp8KVCacheDataTypeE1EEEvPKT_S5_PT0_PKliiiiiiiPKf
    .private_segment_fixed_size: 0
    .sgpr_count:     44
    .sgpr_spill_count: 0
    .symbol:         _ZN4vllm27concat_and_cache_mla_kernelI14__hip_bfloat16hLNS_18Fp8KVCacheDataTypeE1EEEvPKT_S5_PT0_PKliiiiiiiPKf.kd
    .uniform_work_group_size: 1
    .uses_dynamic_stack: false
    .vgpr_count:     11
    .vgpr_spill_count: 0
    .wavefront_size: 64
  - .agpr_count:     0
    .args:
      - .actual_access:  read_only
        .address_space:  global
        .offset:         0
        .size:           8
        .value_kind:     global_buffer
      - .actual_access:  read_only
        .address_space:  global
        .offset:         8
        .size:           8
        .value_kind:     global_buffer
      - .offset:         16
        .size:           4
        .value_kind:     by_value
      - .offset:         24
        .size:           8
        .value_kind:     by_value
      - .offset:         32
        .size:           4
        .value_kind:     hidden_block_count_x
      - .offset:         36
        .size:           4
        .value_kind:     hidden_block_count_y
      - .offset:         40
        .size:           4
        .value_kind:     hidden_block_count_z
      - .offset:         44
        .size:           2
        .value_kind:     hidden_group_size_x
      - .offset:         46
        .size:           2
        .value_kind:     hidden_group_size_y
      - .offset:         48
        .size:           2
        .value_kind:     hidden_group_size_z
      - .offset:         50
        .size:           2
        .value_kind:     hidden_remainder_x
      - .offset:         52
        .size:           2
        .value_kind:     hidden_remainder_y
      - .offset:         54
        .size:           2
        .value_kind:     hidden_remainder_z
      - .offset:         72
        .size:           8
        .value_kind:     hidden_global_offset_x
      - .offset:         80
        .size:           8
        .value_kind:     hidden_global_offset_y
      - .offset:         88
        .size:           8
        .value_kind:     hidden_global_offset_z
      - .offset:         96
        .size:           2
        .value_kind:     hidden_grid_dims
      - .offset:         112
        .size:           8
        .value_kind:     hidden_hostcall_buffer
    .group_segment_fixed_size: 0
    .kernarg_segment_align: 8
    .kernarg_segment_size: 288
    .language:       OpenCL C
    .language_version:
      - 2
      - 0
    .max_flat_workgroup_size: 1024
    .name:           _ZN4vllm18convert_fp8_kernelIhfLNS_18Fp8KVCacheDataTypeE0EEEvPKT0_PT_fl
    .private_segment_fixed_size: 64
    .sgpr_count:     40
    .sgpr_spill_count: 0
    .symbol:         _ZN4vllm18convert_fp8_kernelIhfLNS_18Fp8KVCacheDataTypeE0EEEvPKT0_PT_fl.kd
    .uniform_work_group_size: 1
    .uses_dynamic_stack: false
    .vgpr_count:     41
    .vgpr_spill_count: 0
    .wavefront_size: 64
  - .agpr_count:     0
    .args:
      - .actual_access:  read_only
        .address_space:  global
        .offset:         0
        .size:           8
        .value_kind:     global_buffer
      - .actual_access:  read_only
        .address_space:  global
        .offset:         8
        .size:           8
        .value_kind:     global_buffer
      - .offset:         16
        .size:           4
        .value_kind:     by_value
      - .offset:         24
        .size:           8
        .value_kind:     by_value
      - .offset:         32
        .size:           4
        .value_kind:     hidden_block_count_x
      - .offset:         36
        .size:           4
        .value_kind:     hidden_block_count_y
      - .offset:         40
        .size:           4
        .value_kind:     hidden_block_count_z
      - .offset:         44
        .size:           2
        .value_kind:     hidden_group_size_x
      - .offset:         46
        .size:           2
        .value_kind:     hidden_group_size_y
      - .offset:         48
        .size:           2
        .value_kind:     hidden_group_size_z
      - .offset:         50
        .size:           2
        .value_kind:     hidden_remainder_x
      - .offset:         52
        .size:           2
        .value_kind:     hidden_remainder_y
      - .offset:         54
        .size:           2
        .value_kind:     hidden_remainder_z
      - .offset:         72
        .size:           8
        .value_kind:     hidden_global_offset_x
      - .offset:         80
        .size:           8
        .value_kind:     hidden_global_offset_y
      - .offset:         88
        .size:           8
        .value_kind:     hidden_global_offset_z
      - .offset:         96
        .size:           2
        .value_kind:     hidden_grid_dims
      - .offset:         112
        .size:           8
        .value_kind:     hidden_hostcall_buffer
    .group_segment_fixed_size: 0
    .kernarg_segment_align: 8
    .kernarg_segment_size: 288
    .language:       OpenCL C
    .language_version:
      - 2
      - 0
    .max_flat_workgroup_size: 1024
    .name:           _ZN4vllm18convert_fp8_kernelIhtLNS_18Fp8KVCacheDataTypeE0EEEvPKT0_PT_fl
    .private_segment_fixed_size: 64
    .sgpr_count:     40
    .sgpr_spill_count: 0
    .symbol:         _ZN4vllm18convert_fp8_kernelIhtLNS_18Fp8KVCacheDataTypeE0EEEvPKT0_PT_fl.kd
    .uniform_work_group_size: 1
    .uses_dynamic_stack: false
    .vgpr_count:     41
    .vgpr_spill_count: 0
    .wavefront_size: 64
  - .agpr_count:     0
    .args:
      - .actual_access:  read_only
        .address_space:  global
        .offset:         0
        .size:           8
        .value_kind:     global_buffer
      - .actual_access:  read_only
        .address_space:  global
        .offset:         8
        .size:           8
        .value_kind:     global_buffer
      - .offset:         16
        .size:           4
        .value_kind:     by_value
      - .offset:         24
        .size:           8
        .value_kind:     by_value
      - .offset:         32
        .size:           4
        .value_kind:     hidden_block_count_x
      - .offset:         36
        .size:           4
        .value_kind:     hidden_block_count_y
      - .offset:         40
        .size:           4
        .value_kind:     hidden_block_count_z
      - .offset:         44
        .size:           2
        .value_kind:     hidden_group_size_x
      - .offset:         46
        .size:           2
        .value_kind:     hidden_group_size_y
      - .offset:         48
        .size:           2
        .value_kind:     hidden_group_size_z
      - .offset:         50
        .size:           2
        .value_kind:     hidden_remainder_x
      - .offset:         52
        .size:           2
        .value_kind:     hidden_remainder_y
      - .offset:         54
        .size:           2
        .value_kind:     hidden_remainder_z
      - .offset:         72
        .size:           8
        .value_kind:     hidden_global_offset_x
      - .offset:         80
        .size:           8
        .value_kind:     hidden_global_offset_y
      - .offset:         88
        .size:           8
        .value_kind:     hidden_global_offset_z
      - .offset:         96
        .size:           2
        .value_kind:     hidden_grid_dims
      - .offset:         112
        .size:           8
        .value_kind:     hidden_hostcall_buffer
    .group_segment_fixed_size: 0
    .kernarg_segment_align: 8
    .kernarg_segment_size: 288
    .language:       OpenCL C
    .language_version:
      - 2
      - 0
    .max_flat_workgroup_size: 1024
    .name:           _ZN4vllm18convert_fp8_kernelIh14__hip_bfloat16LNS_18Fp8KVCacheDataTypeE0EEEvPKT0_PT_fl
    .private_segment_fixed_size: 64
    .sgpr_count:     40
    .sgpr_spill_count: 0
    .symbol:         _ZN4vllm18convert_fp8_kernelIh14__hip_bfloat16LNS_18Fp8KVCacheDataTypeE0EEEvPKT0_PT_fl.kd
    .uniform_work_group_size: 1
    .uses_dynamic_stack: false
    .vgpr_count:     41
    .vgpr_spill_count: 0
    .wavefront_size: 64
  - .agpr_count:     0
    .args:
      - .actual_access:  read_only
        .address_space:  global
        .offset:         0
        .size:           8
        .value_kind:     global_buffer
      - .actual_access:  read_only
        .address_space:  global
        .offset:         8
        .size:           8
        .value_kind:     global_buffer
      - .offset:         16
        .size:           4
        .value_kind:     by_value
      - .offset:         24
        .size:           8
        .value_kind:     by_value
      - .offset:         32
        .size:           4
        .value_kind:     hidden_block_count_x
      - .offset:         36
        .size:           4
        .value_kind:     hidden_block_count_y
      - .offset:         40
        .size:           4
        .value_kind:     hidden_block_count_z
      - .offset:         44
        .size:           2
        .value_kind:     hidden_group_size_x
      - .offset:         46
        .size:           2
        .value_kind:     hidden_group_size_y
      - .offset:         48
        .size:           2
        .value_kind:     hidden_group_size_z
      - .offset:         50
        .size:           2
        .value_kind:     hidden_remainder_x
      - .offset:         52
        .size:           2
        .value_kind:     hidden_remainder_y
      - .offset:         54
        .size:           2
        .value_kind:     hidden_remainder_z
      - .offset:         72
        .size:           8
        .value_kind:     hidden_global_offset_x
      - .offset:         80
        .size:           8
        .value_kind:     hidden_global_offset_y
      - .offset:         88
        .size:           8
        .value_kind:     hidden_global_offset_z
      - .offset:         96
        .size:           2
        .value_kind:     hidden_grid_dims
      - .offset:         112
        .size:           8
        .value_kind:     hidden_hostcall_buffer
    .group_segment_fixed_size: 0
    .kernarg_segment_align: 8
    .kernarg_segment_size: 288
    .language:       OpenCL C
    .language_version:
      - 2
      - 0
    .max_flat_workgroup_size: 1024
    .name:           _ZN4vllm18convert_fp8_kernelIfhLNS_18Fp8KVCacheDataTypeE0EEEvPKT0_PT_fl
    .private_segment_fixed_size: 64
    .sgpr_count:     40
    .sgpr_spill_count: 0
    .symbol:         _ZN4vllm18convert_fp8_kernelIfhLNS_18Fp8KVCacheDataTypeE0EEEvPKT0_PT_fl.kd
    .uniform_work_group_size: 1
    .uses_dynamic_stack: false
    .vgpr_count:     41
    .vgpr_spill_count: 0
    .wavefront_size: 64
  - .agpr_count:     0
    .args:
      - .actual_access:  read_only
        .address_space:  global
        .offset:         0
        .size:           8
        .value_kind:     global_buffer
      - .actual_access:  read_only
        .address_space:  global
        .offset:         8
        .size:           8
        .value_kind:     global_buffer
      - .offset:         16
        .size:           4
        .value_kind:     by_value
      - .offset:         24
        .size:           8
        .value_kind:     by_value
      - .offset:         32
        .size:           4
        .value_kind:     hidden_block_count_x
      - .offset:         36
        .size:           4
        .value_kind:     hidden_block_count_y
      - .offset:         40
        .size:           4
        .value_kind:     hidden_block_count_z
      - .offset:         44
        .size:           2
        .value_kind:     hidden_group_size_x
      - .offset:         46
        .size:           2
        .value_kind:     hidden_group_size_y
      - .offset:         48
        .size:           2
        .value_kind:     hidden_group_size_z
      - .offset:         50
        .size:           2
        .value_kind:     hidden_remainder_x
      - .offset:         52
        .size:           2
        .value_kind:     hidden_remainder_y
      - .offset:         54
        .size:           2
        .value_kind:     hidden_remainder_z
      - .offset:         72
        .size:           8
        .value_kind:     hidden_global_offset_x
      - .offset:         80
        .size:           8
        .value_kind:     hidden_global_offset_y
      - .offset:         88
        .size:           8
        .value_kind:     hidden_global_offset_z
      - .offset:         96
        .size:           2
        .value_kind:     hidden_grid_dims
      - .offset:         112
        .size:           8
        .value_kind:     hidden_hostcall_buffer
    .group_segment_fixed_size: 0
    .kernarg_segment_align: 8
    .kernarg_segment_size: 288
    .language:       OpenCL C
    .language_version:
      - 2
      - 0
    .max_flat_workgroup_size: 1024
    .name:           _ZN4vllm18convert_fp8_kernelIthLNS_18Fp8KVCacheDataTypeE0EEEvPKT0_PT_fl
    .private_segment_fixed_size: 64
    .sgpr_count:     40
    .sgpr_spill_count: 0
    .symbol:         _ZN4vllm18convert_fp8_kernelIthLNS_18Fp8KVCacheDataTypeE0EEEvPKT0_PT_fl.kd
    .uniform_work_group_size: 1
    .uses_dynamic_stack: false
    .vgpr_count:     41
    .vgpr_spill_count: 0
    .wavefront_size: 64
  - .agpr_count:     0
    .args:
      - .actual_access:  read_only
        .address_space:  global
        .offset:         0
        .size:           8
        .value_kind:     global_buffer
      - .actual_access:  read_only
        .address_space:  global
        .offset:         8
        .size:           8
        .value_kind:     global_buffer
      - .offset:         16
        .size:           4
        .value_kind:     by_value
      - .offset:         24
        .size:           8
        .value_kind:     by_value
      - .offset:         32
        .size:           4
        .value_kind:     hidden_block_count_x
      - .offset:         36
        .size:           4
        .value_kind:     hidden_block_count_y
      - .offset:         40
        .size:           4
        .value_kind:     hidden_block_count_z
      - .offset:         44
        .size:           2
        .value_kind:     hidden_group_size_x
      - .offset:         46
        .size:           2
        .value_kind:     hidden_group_size_y
      - .offset:         48
        .size:           2
        .value_kind:     hidden_group_size_z
      - .offset:         50
        .size:           2
        .value_kind:     hidden_remainder_x
      - .offset:         52
        .size:           2
        .value_kind:     hidden_remainder_y
      - .offset:         54
        .size:           2
        .value_kind:     hidden_remainder_z
      - .offset:         72
        .size:           8
        .value_kind:     hidden_global_offset_x
      - .offset:         80
        .size:           8
        .value_kind:     hidden_global_offset_y
      - .offset:         88
        .size:           8
        .value_kind:     hidden_global_offset_z
      - .offset:         96
        .size:           2
        .value_kind:     hidden_grid_dims
      - .offset:         112
        .size:           8
        .value_kind:     hidden_hostcall_buffer
    .group_segment_fixed_size: 0
    .kernarg_segment_align: 8
    .kernarg_segment_size: 288
    .language:       OpenCL C
    .language_version:
      - 2
      - 0
    .max_flat_workgroup_size: 1024
    .name:           _ZN4vllm18convert_fp8_kernelI14__hip_bfloat16hLNS_18Fp8KVCacheDataTypeE0EEEvPKT0_PT_fl
    .private_segment_fixed_size: 64
    .sgpr_count:     40
    .sgpr_spill_count: 0
    .symbol:         _ZN4vllm18convert_fp8_kernelI14__hip_bfloat16hLNS_18Fp8KVCacheDataTypeE0EEEvPKT0_PT_fl.kd
    .uniform_work_group_size: 1
    .uses_dynamic_stack: false
    .vgpr_count:     41
    .vgpr_spill_count: 0
    .wavefront_size: 64
  - .agpr_count:     0
    .args:
      - .actual_access:  read_only
        .address_space:  global
        .offset:         0
        .size:           8
        .value_kind:     global_buffer
      - .actual_access:  write_only
        .address_space:  global
        .offset:         8
        .size:           8
        .value_kind:     global_buffer
      - .offset:         16
        .size:           4
        .value_kind:     by_value
      - .offset:         24
        .size:           8
        .value_kind:     by_value
      - .offset:         32
        .size:           4
        .value_kind:     hidden_block_count_x
      - .offset:         36
        .size:           4
        .value_kind:     hidden_block_count_y
      - .offset:         40
        .size:           4
        .value_kind:     hidden_block_count_z
      - .offset:         44
        .size:           2
        .value_kind:     hidden_group_size_x
      - .offset:         46
        .size:           2
        .value_kind:     hidden_group_size_y
      - .offset:         48
        .size:           2
        .value_kind:     hidden_group_size_z
      - .offset:         50
        .size:           2
        .value_kind:     hidden_remainder_x
      - .offset:         52
        .size:           2
        .value_kind:     hidden_remainder_y
      - .offset:         54
        .size:           2
        .value_kind:     hidden_remainder_z
      - .offset:         72
        .size:           8
        .value_kind:     hidden_global_offset_x
      - .offset:         80
        .size:           8
        .value_kind:     hidden_global_offset_y
      - .offset:         88
        .size:           8
        .value_kind:     hidden_global_offset_z
      - .offset:         96
        .size:           2
        .value_kind:     hidden_grid_dims
    .group_segment_fixed_size: 0
    .kernarg_segment_align: 8
    .kernarg_segment_size: 288
    .language:       OpenCL C
    .language_version:
      - 2
      - 0
    .max_flat_workgroup_size: 1024
    .name:           _ZN4vllm18convert_fp8_kernelIhfLNS_18Fp8KVCacheDataTypeE1EEEvPKT0_PT_fl
    .private_segment_fixed_size: 0
    .sgpr_count:     22
    .sgpr_spill_count: 0
    .symbol:         _ZN4vllm18convert_fp8_kernelIhfLNS_18Fp8KVCacheDataTypeE1EEEvPKT0_PT_fl.kd
    .uniform_work_group_size: 1
    .uses_dynamic_stack: false
    .vgpr_count:     14
    .vgpr_spill_count: 0
    .wavefront_size: 64
  - .agpr_count:     0
    .args:
      - .actual_access:  read_only
        .address_space:  global
        .offset:         0
        .size:           8
        .value_kind:     global_buffer
      - .actual_access:  write_only
        .address_space:  global
        .offset:         8
        .size:           8
        .value_kind:     global_buffer
      - .offset:         16
        .size:           4
        .value_kind:     by_value
      - .offset:         24
        .size:           8
        .value_kind:     by_value
      - .offset:         32
        .size:           4
        .value_kind:     hidden_block_count_x
      - .offset:         36
        .size:           4
        .value_kind:     hidden_block_count_y
      - .offset:         40
        .size:           4
        .value_kind:     hidden_block_count_z
      - .offset:         44
        .size:           2
        .value_kind:     hidden_group_size_x
      - .offset:         46
        .size:           2
        .value_kind:     hidden_group_size_y
      - .offset:         48
        .size:           2
        .value_kind:     hidden_group_size_z
      - .offset:         50
        .size:           2
        .value_kind:     hidden_remainder_x
      - .offset:         52
        .size:           2
        .value_kind:     hidden_remainder_y
      - .offset:         54
        .size:           2
        .value_kind:     hidden_remainder_z
      - .offset:         72
        .size:           8
        .value_kind:     hidden_global_offset_x
      - .offset:         80
        .size:           8
        .value_kind:     hidden_global_offset_y
      - .offset:         88
        .size:           8
        .value_kind:     hidden_global_offset_z
      - .offset:         96
        .size:           2
        .value_kind:     hidden_grid_dims
    .group_segment_fixed_size: 0
    .kernarg_segment_align: 8
    .kernarg_segment_size: 288
    .language:       OpenCL C
    .language_version:
      - 2
      - 0
    .max_flat_workgroup_size: 1024
    .name:           _ZN4vllm18convert_fp8_kernelIhtLNS_18Fp8KVCacheDataTypeE1EEEvPKT0_PT_fl
    .private_segment_fixed_size: 0
    .sgpr_count:     22
    .sgpr_spill_count: 0
    .symbol:         _ZN4vllm18convert_fp8_kernelIhtLNS_18Fp8KVCacheDataTypeE1EEEvPKT0_PT_fl.kd
    .uniform_work_group_size: 1
    .uses_dynamic_stack: false
    .vgpr_count:     10
    .vgpr_spill_count: 0
    .wavefront_size: 64
  - .agpr_count:     0
    .args:
      - .actual_access:  read_only
        .address_space:  global
        .offset:         0
        .size:           8
        .value_kind:     global_buffer
      - .actual_access:  write_only
        .address_space:  global
        .offset:         8
        .size:           8
        .value_kind:     global_buffer
      - .offset:         16
        .size:           4
        .value_kind:     by_value
      - .offset:         24
        .size:           8
        .value_kind:     by_value
      - .offset:         32
        .size:           4
        .value_kind:     hidden_block_count_x
      - .offset:         36
        .size:           4
        .value_kind:     hidden_block_count_y
      - .offset:         40
        .size:           4
        .value_kind:     hidden_block_count_z
      - .offset:         44
        .size:           2
        .value_kind:     hidden_group_size_x
      - .offset:         46
        .size:           2
        .value_kind:     hidden_group_size_y
      - .offset:         48
        .size:           2
        .value_kind:     hidden_group_size_z
      - .offset:         50
        .size:           2
        .value_kind:     hidden_remainder_x
      - .offset:         52
        .size:           2
        .value_kind:     hidden_remainder_y
      - .offset:         54
        .size:           2
        .value_kind:     hidden_remainder_z
      - .offset:         72
        .size:           8
        .value_kind:     hidden_global_offset_x
      - .offset:         80
        .size:           8
        .value_kind:     hidden_global_offset_y
      - .offset:         88
        .size:           8
        .value_kind:     hidden_global_offset_z
      - .offset:         96
        .size:           2
        .value_kind:     hidden_grid_dims
    .group_segment_fixed_size: 0
    .kernarg_segment_align: 8
    .kernarg_segment_size: 288
    .language:       OpenCL C
    .language_version:
      - 2
      - 0
    .max_flat_workgroup_size: 1024
    .name:           _ZN4vllm18convert_fp8_kernelIh14__hip_bfloat16LNS_18Fp8KVCacheDataTypeE1EEEvPKT0_PT_fl
    .private_segment_fixed_size: 0
    .sgpr_count:     22
    .sgpr_spill_count: 0
    .symbol:         _ZN4vllm18convert_fp8_kernelIh14__hip_bfloat16LNS_18Fp8KVCacheDataTypeE1EEEvPKT0_PT_fl.kd
    .uniform_work_group_size: 1
    .uses_dynamic_stack: false
    .vgpr_count:     14
    .vgpr_spill_count: 0
    .wavefront_size: 64
  - .agpr_count:     0
    .args:
      - .actual_access:  read_only
        .address_space:  global
        .offset:         0
        .size:           8
        .value_kind:     global_buffer
      - .actual_access:  write_only
        .address_space:  global
        .offset:         8
        .size:           8
        .value_kind:     global_buffer
      - .offset:         16
        .size:           4
        .value_kind:     by_value
      - .offset:         24
        .size:           8
        .value_kind:     by_value
      - .offset:         32
        .size:           4
        .value_kind:     hidden_block_count_x
      - .offset:         36
        .size:           4
        .value_kind:     hidden_block_count_y
      - .offset:         40
        .size:           4
        .value_kind:     hidden_block_count_z
      - .offset:         44
        .size:           2
        .value_kind:     hidden_group_size_x
      - .offset:         46
        .size:           2
        .value_kind:     hidden_group_size_y
      - .offset:         48
        .size:           2
        .value_kind:     hidden_group_size_z
      - .offset:         50
        .size:           2
        .value_kind:     hidden_remainder_x
      - .offset:         52
        .size:           2
        .value_kind:     hidden_remainder_y
      - .offset:         54
        .size:           2
        .value_kind:     hidden_remainder_z
      - .offset:         72
        .size:           8
        .value_kind:     hidden_global_offset_x
      - .offset:         80
        .size:           8
        .value_kind:     hidden_global_offset_y
      - .offset:         88
        .size:           8
        .value_kind:     hidden_global_offset_z
      - .offset:         96
        .size:           2
        .value_kind:     hidden_grid_dims
    .group_segment_fixed_size: 0
    .kernarg_segment_align: 8
    .kernarg_segment_size: 288
    .language:       OpenCL C
    .language_version:
      - 2
      - 0
    .max_flat_workgroup_size: 1024
    .name:           _ZN4vllm18convert_fp8_kernelIfhLNS_18Fp8KVCacheDataTypeE1EEEvPKT0_PT_fl
    .private_segment_fixed_size: 0
    .sgpr_count:     18
    .sgpr_spill_count: 0
    .symbol:         _ZN4vllm18convert_fp8_kernelIfhLNS_18Fp8KVCacheDataTypeE1EEEvPKT0_PT_fl.kd
    .uniform_work_group_size: 1
    .uses_dynamic_stack: false
    .vgpr_count:     7
    .vgpr_spill_count: 0
    .wavefront_size: 64
  - .agpr_count:     0
    .args:
      - .actual_access:  read_only
        .address_space:  global
        .offset:         0
        .size:           8
        .value_kind:     global_buffer
      - .actual_access:  write_only
        .address_space:  global
        .offset:         8
        .size:           8
        .value_kind:     global_buffer
      - .offset:         16
        .size:           4
        .value_kind:     by_value
      - .offset:         24
        .size:           8
        .value_kind:     by_value
      - .offset:         32
        .size:           4
        .value_kind:     hidden_block_count_x
      - .offset:         36
        .size:           4
        .value_kind:     hidden_block_count_y
      - .offset:         40
        .size:           4
        .value_kind:     hidden_block_count_z
      - .offset:         44
        .size:           2
        .value_kind:     hidden_group_size_x
      - .offset:         46
        .size:           2
        .value_kind:     hidden_group_size_y
      - .offset:         48
        .size:           2
        .value_kind:     hidden_group_size_z
      - .offset:         50
        .size:           2
        .value_kind:     hidden_remainder_x
      - .offset:         52
        .size:           2
        .value_kind:     hidden_remainder_y
      - .offset:         54
        .size:           2
        .value_kind:     hidden_remainder_z
      - .offset:         72
        .size:           8
        .value_kind:     hidden_global_offset_x
      - .offset:         80
        .size:           8
        .value_kind:     hidden_global_offset_y
      - .offset:         88
        .size:           8
        .value_kind:     hidden_global_offset_z
      - .offset:         96
        .size:           2
        .value_kind:     hidden_grid_dims
    .group_segment_fixed_size: 0
    .kernarg_segment_align: 8
    .kernarg_segment_size: 288
    .language:       OpenCL C
    .language_version:
      - 2
      - 0
    .max_flat_workgroup_size: 1024
    .name:           _ZN4vllm18convert_fp8_kernelIthLNS_18Fp8KVCacheDataTypeE1EEEvPKT0_PT_fl
    .private_segment_fixed_size: 0
    .sgpr_count:     18
    .sgpr_spill_count: 0
    .symbol:         _ZN4vllm18convert_fp8_kernelIthLNS_18Fp8KVCacheDataTypeE1EEEvPKT0_PT_fl.kd
    .uniform_work_group_size: 1
    .uses_dynamic_stack: false
    .vgpr_count:     7
    .vgpr_spill_count: 0
    .wavefront_size: 64
  - .agpr_count:     0
    .args:
      - .actual_access:  read_only
        .address_space:  global
        .offset:         0
        .size:           8
        .value_kind:     global_buffer
      - .actual_access:  write_only
        .address_space:  global
        .offset:         8
        .size:           8
        .value_kind:     global_buffer
      - .offset:         16
        .size:           4
        .value_kind:     by_value
      - .offset:         24
        .size:           8
        .value_kind:     by_value
      - .offset:         32
        .size:           4
        .value_kind:     hidden_block_count_x
      - .offset:         36
        .size:           4
        .value_kind:     hidden_block_count_y
      - .offset:         40
        .size:           4
        .value_kind:     hidden_block_count_z
      - .offset:         44
        .size:           2
        .value_kind:     hidden_group_size_x
      - .offset:         46
        .size:           2
        .value_kind:     hidden_group_size_y
      - .offset:         48
        .size:           2
        .value_kind:     hidden_group_size_z
      - .offset:         50
        .size:           2
        .value_kind:     hidden_remainder_x
      - .offset:         52
        .size:           2
        .value_kind:     hidden_remainder_y
      - .offset:         54
        .size:           2
        .value_kind:     hidden_remainder_z
      - .offset:         72
        .size:           8
        .value_kind:     hidden_global_offset_x
      - .offset:         80
        .size:           8
        .value_kind:     hidden_global_offset_y
      - .offset:         88
        .size:           8
        .value_kind:     hidden_global_offset_z
      - .offset:         96
        .size:           2
        .value_kind:     hidden_grid_dims
    .group_segment_fixed_size: 0
    .kernarg_segment_align: 8
    .kernarg_segment_size: 288
    .language:       OpenCL C
    .language_version:
      - 2
      - 0
    .max_flat_workgroup_size: 1024
    .name:           _ZN4vllm18convert_fp8_kernelI14__hip_bfloat16hLNS_18Fp8KVCacheDataTypeE1EEEvPKT0_PT_fl
    .private_segment_fixed_size: 0
    .sgpr_count:     18
    .sgpr_spill_count: 0
    .symbol:         _ZN4vllm18convert_fp8_kernelI14__hip_bfloat16hLNS_18Fp8KVCacheDataTypeE1EEEvPKT0_PT_fl.kd
    .uniform_work_group_size: 1
    .uses_dynamic_stack: false
    .vgpr_count:     7
    .vgpr_spill_count: 0
    .wavefront_size: 64
  - .agpr_count:     0
    .args:
      - .actual_access:  read_only
        .address_space:  global
        .offset:         0
        .size:           8
        .value_kind:     global_buffer
      - .actual_access:  write_only
        .address_space:  global
        .offset:         8
        .size:           8
        .value_kind:     global_buffer
      - .actual_access:  read_only
        .address_space:  global
        .offset:         16
        .size:           8
        .value_kind:     global_buffer
      - .actual_access:  read_only
        .address_space:  global
        .offset:         24
        .size:           8
        .value_kind:     global_buffer
      - .offset:         32
        .size:           4
        .value_kind:     by_value
      - .offset:         36
        .size:           4
        .value_kind:     by_value
      - .offset:         40
        .size:           8
        .value_kind:     by_value
      - .offset:         48
        .size:           8
        .value_kind:     by_value
      - .offset:         56
        .size:           8
        .value_kind:     by_value
      - .offset:         64
        .size:           8
        .value_kind:     by_value
      - .actual_access:  read_only
        .address_space:  global
        .offset:         72
        .size:           8
        .value_kind:     global_buffer
      - .actual_access:  read_only
        .address_space:  global
        .offset:         80
        .size:           8
        .value_kind:     global_buffer
      - .offset:         88
        .size:           4
        .value_kind:     hidden_block_count_x
      - .offset:         92
        .size:           4
        .value_kind:     hidden_block_count_y
      - .offset:         96
        .size:           4
        .value_kind:     hidden_block_count_z
      - .offset:         100
        .size:           2
        .value_kind:     hidden_group_size_x
      - .offset:         102
        .size:           2
        .value_kind:     hidden_group_size_y
      - .offset:         104
        .size:           2
        .value_kind:     hidden_group_size_z
      - .offset:         106
        .size:           2
        .value_kind:     hidden_remainder_x
      - .offset:         108
        .size:           2
        .value_kind:     hidden_remainder_y
      - .offset:         110
        .size:           2
        .value_kind:     hidden_remainder_z
      - .offset:         128
        .size:           8
        .value_kind:     hidden_global_offset_x
      - .offset:         136
        .size:           8
        .value_kind:     hidden_global_offset_y
      - .offset:         144
        .size:           8
        .value_kind:     hidden_global_offset_z
      - .offset:         152
        .size:           2
        .value_kind:     hidden_grid_dims
    .group_segment_fixed_size: 0
    .kernarg_segment_align: 8
    .kernarg_segment_size: 344
    .language:       OpenCL C
    .language_version:
      - 2
      - 0
    .max_flat_workgroup_size: 1024
    .name:           _ZN4vllm30gather_and_maybe_dequant_cacheIffLNS_18Fp8KVCacheDataTypeE0EEEvPKT0_PT_PKiS8_iillllPKfS8_
    .private_segment_fixed_size: 0
    .sgpr_count:     44
    .sgpr_spill_count: 0
    .symbol:         _ZN4vllm30gather_and_maybe_dequant_cacheIffLNS_18Fp8KVCacheDataTypeE0EEEvPKT0_PT_PKiS8_iillllPKfS8_.kd
    .uniform_work_group_size: 1
    .uses_dynamic_stack: false
    .vgpr_count:     8
    .vgpr_spill_count: 0
    .wavefront_size: 64
  - .agpr_count:     0
    .args:
      - .actual_access:  read_only
        .address_space:  global
        .offset:         0
        .size:           8
        .value_kind:     global_buffer
      - .actual_access:  write_only
        .address_space:  global
        .offset:         8
        .size:           8
        .value_kind:     global_buffer
      - .actual_access:  read_only
        .address_space:  global
        .offset:         16
        .size:           8
        .value_kind:     global_buffer
      - .actual_access:  read_only
        .address_space:  global
        .offset:         24
        .size:           8
        .value_kind:     global_buffer
      - .offset:         32
        .size:           4
        .value_kind:     by_value
      - .offset:         36
        .size:           4
        .value_kind:     by_value
      - .offset:         40
        .size:           8
        .value_kind:     by_value
      - .offset:         48
        .size:           8
        .value_kind:     by_value
      - .offset:         56
        .size:           8
        .value_kind:     by_value
      - .offset:         64
        .size:           8
        .value_kind:     by_value
      - .actual_access:  read_only
        .address_space:  global
        .offset:         72
        .size:           8
        .value_kind:     global_buffer
      - .actual_access:  read_only
        .address_space:  global
        .offset:         80
        .size:           8
        .value_kind:     global_buffer
      - .offset:         88
        .size:           4
        .value_kind:     hidden_block_count_x
      - .offset:         92
        .size:           4
        .value_kind:     hidden_block_count_y
      - .offset:         96
        .size:           4
        .value_kind:     hidden_block_count_z
      - .offset:         100
        .size:           2
        .value_kind:     hidden_group_size_x
      - .offset:         102
        .size:           2
        .value_kind:     hidden_group_size_y
      - .offset:         104
        .size:           2
        .value_kind:     hidden_group_size_z
      - .offset:         106
        .size:           2
        .value_kind:     hidden_remainder_x
      - .offset:         108
        .size:           2
        .value_kind:     hidden_remainder_y
      - .offset:         110
        .size:           2
        .value_kind:     hidden_remainder_z
      - .offset:         128
        .size:           8
        .value_kind:     hidden_global_offset_x
      - .offset:         136
        .size:           8
        .value_kind:     hidden_global_offset_y
      - .offset:         144
        .size:           8
        .value_kind:     hidden_global_offset_z
      - .offset:         152
        .size:           2
        .value_kind:     hidden_grid_dims
    .group_segment_fixed_size: 0
    .kernarg_segment_align: 8
    .kernarg_segment_size: 344
    .language:       OpenCL C
    .language_version:
      - 2
      - 0
    .max_flat_workgroup_size: 1024
    .name:           _ZN4vllm30gather_and_maybe_dequant_cacheIttLNS_18Fp8KVCacheDataTypeE0EEEvPKT0_PT_PKiS8_iillllPKfS8_
    .private_segment_fixed_size: 0
    .sgpr_count:     44
    .sgpr_spill_count: 0
    .symbol:         _ZN4vllm30gather_and_maybe_dequant_cacheIttLNS_18Fp8KVCacheDataTypeE0EEEvPKT0_PT_PKiS8_iillllPKfS8_.kd
    .uniform_work_group_size: 1
    .uses_dynamic_stack: false
    .vgpr_count:     8
    .vgpr_spill_count: 0
    .wavefront_size: 64
  - .agpr_count:     0
    .args:
      - .actual_access:  read_only
        .address_space:  global
        .offset:         0
        .size:           8
        .value_kind:     global_buffer
      - .actual_access:  write_only
        .address_space:  global
        .offset:         8
        .size:           8
        .value_kind:     global_buffer
      - .actual_access:  read_only
        .address_space:  global
        .offset:         16
        .size:           8
        .value_kind:     global_buffer
      - .actual_access:  read_only
        .address_space:  global
        .offset:         24
        .size:           8
        .value_kind:     global_buffer
      - .offset:         32
        .size:           4
        .value_kind:     by_value
      - .offset:         36
        .size:           4
        .value_kind:     by_value
      - .offset:         40
        .size:           8
        .value_kind:     by_value
      - .offset:         48
        .size:           8
        .value_kind:     by_value
      - .offset:         56
        .size:           8
        .value_kind:     by_value
      - .offset:         64
        .size:           8
        .value_kind:     by_value
      - .actual_access:  read_only
        .address_space:  global
        .offset:         72
        .size:           8
        .value_kind:     global_buffer
      - .actual_access:  read_only
        .address_space:  global
        .offset:         80
        .size:           8
        .value_kind:     global_buffer
      - .offset:         88
        .size:           4
        .value_kind:     hidden_block_count_x
      - .offset:         92
        .size:           4
        .value_kind:     hidden_block_count_y
      - .offset:         96
        .size:           4
        .value_kind:     hidden_block_count_z
      - .offset:         100
        .size:           2
        .value_kind:     hidden_group_size_x
      - .offset:         102
        .size:           2
        .value_kind:     hidden_group_size_y
      - .offset:         104
        .size:           2
        .value_kind:     hidden_group_size_z
      - .offset:         106
        .size:           2
        .value_kind:     hidden_remainder_x
      - .offset:         108
        .size:           2
        .value_kind:     hidden_remainder_y
      - .offset:         110
        .size:           2
        .value_kind:     hidden_remainder_z
      - .offset:         128
        .size:           8
        .value_kind:     hidden_global_offset_x
      - .offset:         136
        .size:           8
        .value_kind:     hidden_global_offset_y
      - .offset:         144
        .size:           8
        .value_kind:     hidden_global_offset_z
      - .offset:         152
        .size:           2
        .value_kind:     hidden_grid_dims
    .group_segment_fixed_size: 0
    .kernarg_segment_align: 8
    .kernarg_segment_size: 344
    .language:       OpenCL C
    .language_version:
      - 2
      - 0
    .max_flat_workgroup_size: 1024
    .name:           _ZN4vllm30gather_and_maybe_dequant_cacheI14__hip_bfloat16S1_LNS_18Fp8KVCacheDataTypeE0EEEvPKT0_PT_PKiS9_iillllPKfS9_
    .private_segment_fixed_size: 0
    .sgpr_count:     44
    .sgpr_spill_count: 0
    .symbol:         _ZN4vllm30gather_and_maybe_dequant_cacheI14__hip_bfloat16S1_LNS_18Fp8KVCacheDataTypeE0EEEvPKT0_PT_PKiS9_iillllPKfS9_.kd
    .uniform_work_group_size: 1
    .uses_dynamic_stack: false
    .vgpr_count:     8
    .vgpr_spill_count: 0
    .wavefront_size: 64
  - .agpr_count:     0
    .args:
      - .actual_access:  read_only
        .address_space:  global
        .offset:         0
        .size:           8
        .value_kind:     global_buffer
      - .actual_access:  write_only
        .address_space:  global
        .offset:         8
        .size:           8
        .value_kind:     global_buffer
      - .actual_access:  read_only
        .address_space:  global
        .offset:         16
        .size:           8
        .value_kind:     global_buffer
      - .actual_access:  read_only
        .address_space:  global
        .offset:         24
        .size:           8
        .value_kind:     global_buffer
      - .offset:         32
        .size:           4
        .value_kind:     by_value
      - .offset:         36
        .size:           4
        .value_kind:     by_value
      - .offset:         40
        .size:           8
        .value_kind:     by_value
      - .offset:         48
        .size:           8
        .value_kind:     by_value
      - .offset:         56
        .size:           8
        .value_kind:     by_value
      - .offset:         64
        .size:           8
        .value_kind:     by_value
      - .actual_access:  read_only
        .address_space:  global
        .offset:         72
        .size:           8
        .value_kind:     global_buffer
      - .actual_access:  read_only
        .address_space:  global
        .offset:         80
        .size:           8
        .value_kind:     global_buffer
      - .offset:         88
        .size:           4
        .value_kind:     hidden_block_count_x
      - .offset:         92
        .size:           4
        .value_kind:     hidden_block_count_y
      - .offset:         96
        .size:           4
        .value_kind:     hidden_block_count_z
      - .offset:         100
        .size:           2
        .value_kind:     hidden_group_size_x
      - .offset:         102
        .size:           2
        .value_kind:     hidden_group_size_y
      - .offset:         104
        .size:           2
        .value_kind:     hidden_group_size_z
      - .offset:         106
        .size:           2
        .value_kind:     hidden_remainder_x
      - .offset:         108
        .size:           2
        .value_kind:     hidden_remainder_y
      - .offset:         110
        .size:           2
        .value_kind:     hidden_remainder_z
      - .offset:         128
        .size:           8
        .value_kind:     hidden_global_offset_x
      - .offset:         136
        .size:           8
        .value_kind:     hidden_global_offset_y
      - .offset:         144
        .size:           8
        .value_kind:     hidden_global_offset_z
      - .offset:         152
        .size:           2
        .value_kind:     hidden_grid_dims
    .group_segment_fixed_size: 0
    .kernarg_segment_align: 8
    .kernarg_segment_size: 344
    .language:       OpenCL C
    .language_version:
      - 2
      - 0
    .max_flat_workgroup_size: 1024
    .name:           _ZN4vllm30gather_and_maybe_dequant_cacheIfhLNS_18Fp8KVCacheDataTypeE1EEEvPKT0_PT_PKiS8_iillllPKfS8_
    .private_segment_fixed_size: 0
    .sgpr_count:     47
    .sgpr_spill_count: 0
    .symbol:         _ZN4vllm30gather_and_maybe_dequant_cacheIfhLNS_18Fp8KVCacheDataTypeE1EEEvPKT0_PT_PKiS8_iillllPKfS8_.kd
    .uniform_work_group_size: 1
    .uses_dynamic_stack: false
    .vgpr_count:     6
    .vgpr_spill_count: 0
    .wavefront_size: 64
  - .agpr_count:     0
    .args:
      - .actual_access:  read_only
        .address_space:  global
        .offset:         0
        .size:           8
        .value_kind:     global_buffer
      - .actual_access:  write_only
        .address_space:  global
        .offset:         8
        .size:           8
        .value_kind:     global_buffer
      - .actual_access:  read_only
        .address_space:  global
        .offset:         16
        .size:           8
        .value_kind:     global_buffer
      - .actual_access:  read_only
        .address_space:  global
        .offset:         24
        .size:           8
        .value_kind:     global_buffer
      - .offset:         32
        .size:           4
        .value_kind:     by_value
      - .offset:         36
        .size:           4
        .value_kind:     by_value
      - .offset:         40
        .size:           8
        .value_kind:     by_value
      - .offset:         48
        .size:           8
        .value_kind:     by_value
      - .offset:         56
        .size:           8
        .value_kind:     by_value
      - .offset:         64
        .size:           8
        .value_kind:     by_value
      - .actual_access:  read_only
        .address_space:  global
        .offset:         72
        .size:           8
        .value_kind:     global_buffer
      - .actual_access:  read_only
        .address_space:  global
        .offset:         80
        .size:           8
        .value_kind:     global_buffer
      - .offset:         88
        .size:           4
        .value_kind:     hidden_block_count_x
      - .offset:         92
        .size:           4
        .value_kind:     hidden_block_count_y
      - .offset:         96
        .size:           4
        .value_kind:     hidden_block_count_z
      - .offset:         100
        .size:           2
        .value_kind:     hidden_group_size_x
      - .offset:         102
        .size:           2
        .value_kind:     hidden_group_size_y
      - .offset:         104
        .size:           2
        .value_kind:     hidden_group_size_z
      - .offset:         106
        .size:           2
        .value_kind:     hidden_remainder_x
      - .offset:         108
        .size:           2
        .value_kind:     hidden_remainder_y
      - .offset:         110
        .size:           2
        .value_kind:     hidden_remainder_z
      - .offset:         128
        .size:           8
        .value_kind:     hidden_global_offset_x
      - .offset:         136
        .size:           8
        .value_kind:     hidden_global_offset_y
      - .offset:         144
        .size:           8
        .value_kind:     hidden_global_offset_z
      - .offset:         152
        .size:           2
        .value_kind:     hidden_grid_dims
    .group_segment_fixed_size: 0
    .kernarg_segment_align: 8
    .kernarg_segment_size: 344
    .language:       OpenCL C
    .language_version:
      - 2
      - 0
    .max_flat_workgroup_size: 1024
    .name:           _ZN4vllm30gather_and_maybe_dequant_cacheIthLNS_18Fp8KVCacheDataTypeE1EEEvPKT0_PT_PKiS8_iillllPKfS8_
    .private_segment_fixed_size: 0
    .sgpr_count:     47
    .sgpr_spill_count: 0
    .symbol:         _ZN4vllm30gather_and_maybe_dequant_cacheIthLNS_18Fp8KVCacheDataTypeE1EEEvPKT0_PT_PKiS8_iillllPKfS8_.kd
    .uniform_work_group_size: 1
    .uses_dynamic_stack: false
    .vgpr_count:     6
    .vgpr_spill_count: 0
    .wavefront_size: 64
  - .agpr_count:     0
    .args:
      - .actual_access:  read_only
        .address_space:  global
        .offset:         0
        .size:           8
        .value_kind:     global_buffer
      - .actual_access:  write_only
        .address_space:  global
        .offset:         8
        .size:           8
        .value_kind:     global_buffer
      - .actual_access:  read_only
        .address_space:  global
        .offset:         16
        .size:           8
        .value_kind:     global_buffer
      - .actual_access:  read_only
        .address_space:  global
        .offset:         24
        .size:           8
        .value_kind:     global_buffer
      - .offset:         32
        .size:           4
        .value_kind:     by_value
      - .offset:         36
        .size:           4
        .value_kind:     by_value
      - .offset:         40
        .size:           8
        .value_kind:     by_value
      - .offset:         48
        .size:           8
        .value_kind:     by_value
      - .offset:         56
        .size:           8
        .value_kind:     by_value
      - .offset:         64
        .size:           8
        .value_kind:     by_value
      - .actual_access:  read_only
        .address_space:  global
        .offset:         72
        .size:           8
        .value_kind:     global_buffer
      - .actual_access:  read_only
        .address_space:  global
        .offset:         80
        .size:           8
        .value_kind:     global_buffer
      - .offset:         88
        .size:           4
        .value_kind:     hidden_block_count_x
      - .offset:         92
        .size:           4
        .value_kind:     hidden_block_count_y
      - .offset:         96
        .size:           4
        .value_kind:     hidden_block_count_z
      - .offset:         100
        .size:           2
        .value_kind:     hidden_group_size_x
      - .offset:         102
        .size:           2
        .value_kind:     hidden_group_size_y
      - .offset:         104
        .size:           2
        .value_kind:     hidden_group_size_z
      - .offset:         106
        .size:           2
        .value_kind:     hidden_remainder_x
      - .offset:         108
        .size:           2
        .value_kind:     hidden_remainder_y
      - .offset:         110
        .size:           2
        .value_kind:     hidden_remainder_z
      - .offset:         128
        .size:           8
        .value_kind:     hidden_global_offset_x
      - .offset:         136
        .size:           8
        .value_kind:     hidden_global_offset_y
      - .offset:         144
        .size:           8
        .value_kind:     hidden_global_offset_z
      - .offset:         152
        .size:           2
        .value_kind:     hidden_grid_dims
    .group_segment_fixed_size: 0
    .kernarg_segment_align: 8
    .kernarg_segment_size: 344
    .language:       OpenCL C
    .language_version:
      - 2
      - 0
    .max_flat_workgroup_size: 1024
    .name:           _ZN4vllm30gather_and_maybe_dequant_cacheI14__hip_bfloat16hLNS_18Fp8KVCacheDataTypeE1EEEvPKT0_PT_PKiS9_iillllPKfS9_
    .private_segment_fixed_size: 0
    .sgpr_count:     47
    .sgpr_spill_count: 0
    .symbol:         _ZN4vllm30gather_and_maybe_dequant_cacheI14__hip_bfloat16hLNS_18Fp8KVCacheDataTypeE1EEEvPKT0_PT_PKiS9_iillllPKfS9_.kd
    .uniform_work_group_size: 1
    .uses_dynamic_stack: false
    .vgpr_count:     6
    .vgpr_spill_count: 0
    .wavefront_size: 64
  - .agpr_count:     0
    .args:
      - .actual_access:  read_only
        .address_space:  global
        .offset:         0
        .size:           8
        .value_kind:     global_buffer
      - .actual_access:  write_only
        .address_space:  global
        .offset:         8
        .size:           8
        .value_kind:     global_buffer
      - .actual_access:  read_only
        .address_space:  global
        .offset:         16
        .size:           8
        .value_kind:     global_buffer
      - .actual_access:  read_only
        .address_space:  global
        .offset:         24
        .size:           8
        .value_kind:     global_buffer
      - .offset:         32
        .size:           4
        .value_kind:     by_value
      - .offset:         36
        .size:           4
        .value_kind:     by_value
      - .offset:         40
        .size:           8
        .value_kind:     by_value
      - .offset:         48
        .size:           8
        .value_kind:     by_value
      - .offset:         56
        .size:           8
        .value_kind:     by_value
      - .offset:         64
        .size:           8
        .value_kind:     by_value
      - .actual_access:  read_only
        .address_space:  global
        .offset:         72
        .size:           8
        .value_kind:     global_buffer
      - .offset:         80
        .size:           4
        .value_kind:     hidden_block_count_x
      - .offset:         84
        .size:           4
        .value_kind:     hidden_block_count_y
      - .offset:         88
        .size:           4
        .value_kind:     hidden_block_count_z
      - .offset:         92
        .size:           2
        .value_kind:     hidden_group_size_x
      - .offset:         94
        .size:           2
        .value_kind:     hidden_group_size_y
      - .offset:         96
        .size:           2
        .value_kind:     hidden_group_size_z
      - .offset:         98
        .size:           2
        .value_kind:     hidden_remainder_x
      - .offset:         100
        .size:           2
        .value_kind:     hidden_remainder_y
      - .offset:         102
        .size:           2
        .value_kind:     hidden_remainder_z
      - .offset:         120
        .size:           8
        .value_kind:     hidden_global_offset_x
      - .offset:         128
        .size:           8
        .value_kind:     hidden_global_offset_y
      - .offset:         136
        .size:           8
        .value_kind:     hidden_global_offset_z
      - .offset:         144
        .size:           2
        .value_kind:     hidden_grid_dims
    .group_segment_fixed_size: 0
    .kernarg_segment_align: 8
    .kernarg_segment_size: 336
    .language:       OpenCL C
    .language_version:
      - 2
      - 0
    .max_flat_workgroup_size: 1024
    .name:           _ZN4vllm15cp_gather_cacheIjEEvPKT_PS1_PKiS6_iillllS6_
    .private_segment_fixed_size: 0
    .sgpr_count:     37
    .sgpr_spill_count: 0
    .symbol:         _ZN4vllm15cp_gather_cacheIjEEvPKT_PS1_PKiS6_iillllS6_.kd
    .uniform_work_group_size: 1
    .uses_dynamic_stack: false
    .vgpr_count:     8
    .vgpr_spill_count: 0
    .wavefront_size: 64
  - .agpr_count:     0
    .args:
      - .actual_access:  read_only
        .address_space:  global
        .offset:         0
        .size:           8
        .value_kind:     global_buffer
      - .actual_access:  write_only
        .address_space:  global
        .offset:         8
        .size:           8
        .value_kind:     global_buffer
      - .actual_access:  read_only
        .address_space:  global
        .offset:         16
        .size:           8
        .value_kind:     global_buffer
      - .actual_access:  read_only
        .address_space:  global
        .offset:         24
        .size:           8
        .value_kind:     global_buffer
      - .offset:         32
        .size:           4
        .value_kind:     by_value
      - .offset:         36
        .size:           4
        .value_kind:     by_value
      - .offset:         40
        .size:           8
        .value_kind:     by_value
      - .offset:         48
        .size:           8
        .value_kind:     by_value
      - .offset:         56
        .size:           8
        .value_kind:     by_value
      - .offset:         64
        .size:           8
        .value_kind:     by_value
      - .actual_access:  read_only
        .address_space:  global
        .offset:         72
        .size:           8
        .value_kind:     global_buffer
      - .offset:         80
        .size:           4
        .value_kind:     hidden_block_count_x
      - .offset:         84
        .size:           4
        .value_kind:     hidden_block_count_y
      - .offset:         88
        .size:           4
        .value_kind:     hidden_block_count_z
      - .offset:         92
        .size:           2
        .value_kind:     hidden_group_size_x
      - .offset:         94
        .size:           2
        .value_kind:     hidden_group_size_y
      - .offset:         96
        .size:           2
        .value_kind:     hidden_group_size_z
      - .offset:         98
        .size:           2
        .value_kind:     hidden_remainder_x
      - .offset:         100
        .size:           2
        .value_kind:     hidden_remainder_y
      - .offset:         102
        .size:           2
        .value_kind:     hidden_remainder_z
      - .offset:         120
        .size:           8
        .value_kind:     hidden_global_offset_x
      - .offset:         128
        .size:           8
        .value_kind:     hidden_global_offset_y
      - .offset:         136
        .size:           8
        .value_kind:     hidden_global_offset_z
      - .offset:         144
        .size:           2
        .value_kind:     hidden_grid_dims
    .group_segment_fixed_size: 0
    .kernarg_segment_align: 8
    .kernarg_segment_size: 336
    .language:       OpenCL C
    .language_version:
      - 2
      - 0
    .max_flat_workgroup_size: 1024
    .name:           _ZN4vllm15cp_gather_cacheItEEvPKT_PS1_PKiS6_iillllS6_
    .private_segment_fixed_size: 0
    .sgpr_count:     37
    .sgpr_spill_count: 0
    .symbol:         _ZN4vllm15cp_gather_cacheItEEvPKT_PS1_PKiS6_iillllS6_.kd
    .uniform_work_group_size: 1
    .uses_dynamic_stack: false
    .vgpr_count:     8
    .vgpr_spill_count: 0
    .wavefront_size: 64
  - .agpr_count:     0
    .args:
      - .actual_access:  read_only
        .address_space:  global
        .offset:         0
        .size:           8
        .value_kind:     global_buffer
      - .actual_access:  write_only
        .address_space:  global
        .offset:         8
        .size:           8
        .value_kind:     global_buffer
      - .actual_access:  read_only
        .address_space:  global
        .offset:         16
        .size:           8
        .value_kind:     global_buffer
      - .actual_access:  read_only
        .address_space:  global
        .offset:         24
        .size:           8
        .value_kind:     global_buffer
      - .offset:         32
        .size:           4
        .value_kind:     by_value
      - .offset:         36
        .size:           4
        .value_kind:     by_value
      - .offset:         40
        .size:           8
        .value_kind:     by_value
      - .offset:         48
        .size:           8
        .value_kind:     by_value
      - .offset:         56
        .size:           8
        .value_kind:     by_value
      - .offset:         64
        .size:           8
        .value_kind:     by_value
      - .actual_access:  read_only
        .address_space:  global
        .offset:         72
        .size:           8
        .value_kind:     global_buffer
      - .offset:         80
        .size:           4
        .value_kind:     hidden_block_count_x
      - .offset:         84
        .size:           4
        .value_kind:     hidden_block_count_y
      - .offset:         88
        .size:           4
        .value_kind:     hidden_block_count_z
      - .offset:         92
        .size:           2
        .value_kind:     hidden_group_size_x
      - .offset:         94
        .size:           2
        .value_kind:     hidden_group_size_y
      - .offset:         96
        .size:           2
        .value_kind:     hidden_group_size_z
      - .offset:         98
        .size:           2
        .value_kind:     hidden_remainder_x
      - .offset:         100
        .size:           2
        .value_kind:     hidden_remainder_y
      - .offset:         102
        .size:           2
        .value_kind:     hidden_remainder_z
      - .offset:         120
        .size:           8
        .value_kind:     hidden_global_offset_x
      - .offset:         128
        .size:           8
        .value_kind:     hidden_global_offset_y
      - .offset:         136
        .size:           8
        .value_kind:     hidden_global_offset_z
      - .offset:         144
        .size:           2
        .value_kind:     hidden_grid_dims
    .group_segment_fixed_size: 0
    .kernarg_segment_align: 8
    .kernarg_segment_size: 336
    .language:       OpenCL C
    .language_version:
      - 2
      - 0
    .max_flat_workgroup_size: 1024
    .name:           _ZN4vllm15cp_gather_cacheIhEEvPKT_PS1_PKiS6_iillllS6_
    .private_segment_fixed_size: 0
    .sgpr_count:     37
    .sgpr_spill_count: 0
    .symbol:         _ZN4vllm15cp_gather_cacheIhEEvPKT_PS1_PKiS6_iillllS6_.kd
    .uniform_work_group_size: 1
    .uses_dynamic_stack: false
    .vgpr_count:     6
    .vgpr_spill_count: 0
    .wavefront_size: 64
amdhsa.target:   amdgcn-amd-amdhsa--gfx950
amdhsa.version:
  - 1
  - 2
...

	.end_amdgpu_metadata
